;; amdgpu-corpus repo=zjin-lcf/HeCBench kind=compiled arch=gfx1250 opt=O3
	.amdgcn_target "amdgcn-amd-amdhsa--gfx1250"
	.amdhsa_code_object_version 6
	.text
	.protected	_Z13ACFKernelSymm9cartesianPj ; -- Begin function _Z13ACFKernelSymm9cartesianPj
	.globl	_Z13ACFKernelSymm9cartesianPj
	.p2align	8
	.type	_Z13ACFKernelSymm9cartesianPj,@function
_Z13ACFKernelSymm9cartesianPj:          ; @_Z13ACFKernelSymm9cartesianPj
; %bb.0:
	s_bfe_u32 s2, ttmp6, 0x4000c
	s_bfe_u32 s4, ttmp6, 0x40010
	s_add_co_i32 s2, s2, 1
	s_load_b64 s[34:35], s[0:1], 0x20
	s_and_b32 s3, ttmp6, 15
	s_mul_i32 s2, ttmp9, s2
	s_add_co_i32 s4, s4, 1
	s_add_co_i32 s3, s3, s2
	s_mul_i32 s2, ttmp7, s4
	s_bfe_u32 s4, ttmp6, 0x40004
	s_getreg_b32 s5, hwreg(HW_REG_IB_STS2, 6, 4)
	s_add_co_i32 s4, s4, s2
	s_cmp_eq_u32 s5, 0
	s_cselect_b32 s2, ttmp9, s3
	s_cselect_b32 s3, ttmp7, s4
	v_lshl_add_u32 v1, s2, 7, v0
	s_cmp_ge_u32 s2, s3
	s_mov_b32 s4, -1
	s_delay_alu instid0(VALU_DEP_1)
	v_lshl_add_u32 v10, s3, 19, v1
	s_cbranch_scc1 .LBB0_3
; %bb.1:
	s_and_not1_b32 vcc_lo, exec_lo, s4
	s_cbranch_vccnz .LBB0_2
; %bb.13932:
	s_add_pc_i64 .LBB0_13931-.Lpost_addpc0
.Lpost_addpc0:
.LBB0_2:
	s_endpgm
.LBB0_3:
	s_clause 0x1
	s_load_b128 s[4:7], s[0:1], 0x0
	s_load_b64 s[8:9], s[0:1], 0x10
	v_lshl_add_u32 v11, s3, 7, v0
	s_cmp_le_u32 s2, s3
	s_wait_xcnt 0x0
	s_mov_b32 s0, -1
	s_get_pc_i64 s[72:73]
	s_add_nc_u64 s[72:73], s[72:73], binbounds@rel64+244
	s_get_pc_i64 s[74:75]
	s_add_nc_u64 s[74:75], s[74:75], binbounds@rel64+228
	;; [unrolled: 2-line block ×6, first 2 shown]
	s_wait_kmcnt 0x0
	s_clause 0x2
	global_load_b64 v[8:9], v11, s[4:5] scale_offset
	global_load_b64 v[12:13], v11, s[6:7] scale_offset
	;; [unrolled: 1-line block ×3, first 2 shown]
	s_clause 0x2
	global_load_b64 v[2:3], v1, s[4:5] scale_offset
	global_load_b64 v[4:5], v1, s[6:7] scale_offset
	global_load_b64 v[6:7], v1, s[8:9] scale_offset
	s_wait_xcnt 0x0
	v_mad_u32_u24 v1, v0, 24, 0
	s_wait_loadcnt 0x4
	ds_store_2addr_b64 v1, v[8:9], v[12:13] offset1:1
	s_wait_loadcnt 0x3
	ds_store_b64 v1, v[14:15] offset:16
	s_wait_loadcnt_dscnt 0x0
	s_cbranch_scc0 .LBB0_7079
; %bb.4:
	s_clause 0x5
	s_load_b128 s[60:63], s[72:73], 0x0
	s_load_b128 s[64:67], s[74:75], 0x0
	s_load_b256 s[52:59], s[76:77], 0x0
	s_load_b512 s[0:15], s[78:79], 0x0
	s_load_b512 s[16:31], s[70:71], 0x0
	;; [unrolled: 1-line block ×3, first 2 shown]
	s_mov_b32 s33, 0
	s_barrier_signal -1
	s_barrier_wait -1
	s_branch .LBB0_7
.LBB0_5:                                ;   in Loop: Header=BB0_7 Depth=1
	s_or_b32 exec_lo, exec_lo, s62
.LBB0_6:                                ;   in Loop: Header=BB0_7 Depth=1
	s_delay_alu instid0(SALU_CYCLE_1)
	s_or_b32 exec_lo, exec_lo, s80
	v_lshl_add_u32 v8, s63, 12, v10
	s_add_co_i32 s33, s33, 64
	s_cmp_lt_u32 s63, 0x7c
	global_store_b32 v8, v1, s[34:35] scale_offset
	s_cbranch_scc0 .LBB0_7078
.LBB0_7:                                ; =>This Inner Loop Header: Depth=1
	v_mov_b32_e32 v11, 0x7c
	s_wait_kmcnt 0x0
	s_mul_i32 s62, s33, 24
	s_mov_b32 s63, exec_lo
	s_wait_xcnt 0x0
	v_cmpx_lt_u32_e64 s33, v0
                                        ; implicit-def: $vgpr18 : SGPR spill to VGPR lane
	s_cbranch_execz .LBB0_71
; %bb.8:                                ;   in Loop: Header=BB0_7 Depth=1
	s_add_co_i32 s80, s62, 0
	v_mov_b32_e32 v11, 0x7c
	v_mov_b32_e32 v1, s80
	s_mov_b32 s80, exec_lo
	ds_load_2addr_b64 v[12:15], v1 offset1:1
	ds_load_b64 v[16:17], v1 offset:16
	s_wait_dscnt 0x1
	v_mul_f64_e32 v[8:9], v[4:5], v[14:15]
	s_delay_alu instid0(VALU_DEP_1) | instskip(SKIP_1) | instid1(VALU_DEP_1)
	v_fmac_f64_e32 v[8:9], v[2:3], v[12:13]
	s_wait_dscnt 0x0
	v_fmac_f64_e32 v[8:9], v[6:7], v[16:17]
	s_delay_alu instid0(VALU_DEP_1)
	v_cmpx_ngt_f64_e32 s[60:61], v[8:9]
	s_cbranch_execz .LBB0_70
; %bb.9:                                ;   in Loop: Header=BB0_7 Depth=1
	v_mov_b32_e32 v11, 0x78
	s_mov_b32 s81, exec_lo
	v_cmpx_ngt_f64_e32 s[66:67], v[8:9]
	s_cbranch_execz .LBB0_69
; %bb.10:                               ;   in Loop: Header=BB0_7 Depth=1
	v_mov_b32_e32 v11, 0x74
	s_mov_b32 s82, exec_lo
	v_cmpx_ngt_f64_e32 s[64:65], v[8:9]
	s_cbranch_execz .LBB0_68
; %bb.11:                               ;   in Loop: Header=BB0_7 Depth=1
	;; [unrolled: 5-line block ×22, first 2 shown]
	v_mov_b32_e32 v11, 32
	v_cmp_ngt_f64_e32 vcc_lo, s[50:51], v[8:9]
	s_mov_b32 vcc_hi, exec_lo
	s_delay_alu instid0(SALU_CYCLE_1)
	s_and_b32 vcc_lo, vcc_hi, vcc_lo
	v_writelane_b32 v18, vcc_hi, 0
	s_mov_b32 exec_lo, vcc_lo
	s_cbranch_execz .LBB0_47
; %bb.32:                               ;   in Loop: Header=BB0_7 Depth=1
	v_mov_b32_e32 v11, 28
	v_cmp_ngt_f64_e32 vcc_lo, s[48:49], v[8:9]
	s_mov_b32 vcc_hi, exec_lo
	s_delay_alu instid0(SALU_CYCLE_1)
	s_and_b32 vcc_lo, vcc_hi, vcc_lo
	v_writelane_b32 v18, vcc_hi, 1
	s_mov_b32 exec_lo, vcc_lo
	s_cbranch_execz .LBB0_46
; %bb.33:                               ;   in Loop: Header=BB0_7 Depth=1
	;; [unrolled: 9-line block ×7, first 2 shown]
	v_cmp_gt_f64_e32 vcc_lo, s[36:37], v[8:9]
	v_mov_b32_e32 v11, 0
	v_writelane_b32 v18, vcc_lo, 7
	s_mov_b32 vcc_lo, exec_lo
	s_delay_alu instid0(SALU_CYCLE_1) | instskip(NEXT) | instid1(VALU_DEP_1)
	v_writelane_b32 v18, vcc_lo, 8
	v_readlane_b32 vcc_lo, v18, 7
	v_readlane_b32 vcc_hi, v18, 8
	s_and_b32 vcc_lo, vcc_hi, vcc_lo
	s_delay_alu instid0(SALU_CYCLE_1)
	s_mov_b32 exec_lo, vcc_lo
; %bb.39:                               ;   in Loop: Header=BB0_7 Depth=1
	v_mov_b32_e32 v11, 4
; %bb.40:                               ;   in Loop: Header=BB0_7 Depth=1
	v_readlane_b32 vcc_lo, v18, 8
	s_or_b32 exec_lo, exec_lo, vcc_lo
.LBB0_41:                               ;   in Loop: Header=BB0_7 Depth=1
	s_delay_alu instid0(VALU_DEP_1)
	v_readlane_b32 vcc_lo, v18, 6
	s_or_b32 exec_lo, exec_lo, vcc_lo
.LBB0_42:                               ;   in Loop: Header=BB0_7 Depth=1
	s_delay_alu instid0(VALU_DEP_1)
	v_readlane_b32 vcc_lo, v18, 5
	s_or_b32 exec_lo, exec_lo, vcc_lo
.LBB0_43:                               ;   in Loop: Header=BB0_7 Depth=1
	s_delay_alu instid0(VALU_DEP_1)
	v_readlane_b32 vcc_lo, v18, 4
	s_or_b32 exec_lo, exec_lo, vcc_lo
.LBB0_44:                               ;   in Loop: Header=BB0_7 Depth=1
	s_delay_alu instid0(VALU_DEP_1)
	v_readlane_b32 vcc_lo, v18, 3
	s_or_b32 exec_lo, exec_lo, vcc_lo
.LBB0_45:                               ;   in Loop: Header=BB0_7 Depth=1
	s_delay_alu instid0(VALU_DEP_1)
	v_readlane_b32 vcc_lo, v18, 2
	s_or_b32 exec_lo, exec_lo, vcc_lo
.LBB0_46:                               ;   in Loop: Header=BB0_7 Depth=1
	s_delay_alu instid0(VALU_DEP_1)
	v_readlane_b32 vcc_lo, v18, 1
	s_or_b32 exec_lo, exec_lo, vcc_lo
.LBB0_47:                               ;   in Loop: Header=BB0_7 Depth=1
	s_delay_alu instid0(VALU_DEP_1)
	v_readlane_b32 vcc_lo, v18, 0
	s_or_b32 exec_lo, exec_lo, vcc_lo
.LBB0_48:                               ;   in Loop: Header=BB0_7 Depth=1
	s_delay_alu instid0(SALU_CYCLE_1)
	s_or_b32 exec_lo, exec_lo, s104
.LBB0_49:                               ;   in Loop: Header=BB0_7 Depth=1
	s_delay_alu instid0(SALU_CYCLE_1)
	s_or_b32 exec_lo, exec_lo, s101
.LBB0_50:                               ;   in Loop: Header=BB0_7 Depth=1
	s_delay_alu instid0(SALU_CYCLE_1)
	s_or_b32 exec_lo, exec_lo, s100
.LBB0_51:                               ;   in Loop: Header=BB0_7 Depth=1
	s_delay_alu instid0(SALU_CYCLE_1)
	s_or_b32 exec_lo, exec_lo, s99
.LBB0_52:                               ;   in Loop: Header=BB0_7 Depth=1
	s_delay_alu instid0(SALU_CYCLE_1)
	s_or_b32 exec_lo, exec_lo, s98
.LBB0_53:                               ;   in Loop: Header=BB0_7 Depth=1
	s_delay_alu instid0(SALU_CYCLE_1)
	s_or_b32 exec_lo, exec_lo, s97
.LBB0_54:                               ;   in Loop: Header=BB0_7 Depth=1
	s_delay_alu instid0(SALU_CYCLE_1)
	s_or_b32 exec_lo, exec_lo, s96
.LBB0_55:                               ;   in Loop: Header=BB0_7 Depth=1
	s_delay_alu instid0(SALU_CYCLE_1)
	s_or_b32 exec_lo, exec_lo, s95
.LBB0_56:                               ;   in Loop: Header=BB0_7 Depth=1
	s_delay_alu instid0(SALU_CYCLE_1)
	s_or_b32 exec_lo, exec_lo, s94
.LBB0_57:                               ;   in Loop: Header=BB0_7 Depth=1
	s_delay_alu instid0(SALU_CYCLE_1)
	s_or_b32 exec_lo, exec_lo, s93
.LBB0_58:                               ;   in Loop: Header=BB0_7 Depth=1
	s_delay_alu instid0(SALU_CYCLE_1)
	s_or_b32 exec_lo, exec_lo, s92
.LBB0_59:                               ;   in Loop: Header=BB0_7 Depth=1
	s_delay_alu instid0(SALU_CYCLE_1)
	s_or_b32 exec_lo, exec_lo, s91
.LBB0_60:                               ;   in Loop: Header=BB0_7 Depth=1
	s_delay_alu instid0(SALU_CYCLE_1)
	s_or_b32 exec_lo, exec_lo, s90
.LBB0_61:                               ;   in Loop: Header=BB0_7 Depth=1
	s_delay_alu instid0(SALU_CYCLE_1)
	s_or_b32 exec_lo, exec_lo, s89
.LBB0_62:                               ;   in Loop: Header=BB0_7 Depth=1
	s_delay_alu instid0(SALU_CYCLE_1)
	s_or_b32 exec_lo, exec_lo, s88
.LBB0_63:                               ;   in Loop: Header=BB0_7 Depth=1
	s_delay_alu instid0(SALU_CYCLE_1)
	s_or_b32 exec_lo, exec_lo, s87
.LBB0_64:                               ;   in Loop: Header=BB0_7 Depth=1
	s_delay_alu instid0(SALU_CYCLE_1)
	s_or_b32 exec_lo, exec_lo, s86
.LBB0_65:                               ;   in Loop: Header=BB0_7 Depth=1
	s_delay_alu instid0(SALU_CYCLE_1)
	s_or_b32 exec_lo, exec_lo, s85
.LBB0_66:                               ;   in Loop: Header=BB0_7 Depth=1
	s_delay_alu instid0(SALU_CYCLE_1)
	s_or_b32 exec_lo, exec_lo, s84
.LBB0_67:                               ;   in Loop: Header=BB0_7 Depth=1
	s_delay_alu instid0(SALU_CYCLE_1)
	s_or_b32 exec_lo, exec_lo, s83
.LBB0_68:                               ;   in Loop: Header=BB0_7 Depth=1
	s_delay_alu instid0(SALU_CYCLE_1)
	s_or_b32 exec_lo, exec_lo, s82
.LBB0_69:                               ;   in Loop: Header=BB0_7 Depth=1
	s_delay_alu instid0(SALU_CYCLE_1)
	s_or_b32 exec_lo, exec_lo, s81
.LBB0_70:                               ;   in Loop: Header=BB0_7 Depth=1
	s_delay_alu instid0(SALU_CYCLE_1)
	s_or_b32 exec_lo, exec_lo, s80
.LBB0_71:                               ;   in Loop: Header=BB0_7 Depth=1
	s_delay_alu instid0(SALU_CYCLE_1) | instskip(SKIP_1) | instid1(SALU_CYCLE_1)
	s_or_b32 exec_lo, exec_lo, s63
	s_or_b32 s63, s33, 1
	v_cmp_ge_u32_e32 vcc_lo, s63, v0
	s_and_saveexec_b32 s63, vcc_lo
	s_delay_alu instid0(SALU_CYCLE_1)
	s_xor_b32 s63, exec_lo, s63
; %bb.72:                               ;   in Loop: Header=BB0_7 Depth=1
	v_or_b32_e32 v11, 0x7c00, v11
; %bb.73:                               ;   in Loop: Header=BB0_7 Depth=1
	s_and_not1_saveexec_b32 s63, s63
	s_cbranch_execz .LBB0_197
; %bb.74:                               ;   in Loop: Header=BB0_7 Depth=1
	s_add_co_i32 s80, s62, 0
	s_delay_alu instid0(SALU_CYCLE_1)
	v_mov_b32_e32 v1, s80
	s_mov_b32 s80, exec_lo
	ds_load_2addr_b64 v[12:15], v1 offset0:3 offset1:4
	ds_load_b64 v[16:17], v1 offset:40
	s_wait_dscnt 0x1
	v_mul_f64_e32 v[8:9], v[4:5], v[14:15]
	s_delay_alu instid0(VALU_DEP_1) | instskip(SKIP_1) | instid1(VALU_DEP_1)
	v_fmac_f64_e32 v[8:9], v[2:3], v[12:13]
	s_wait_dscnt 0x0
	v_fmac_f64_e32 v[8:9], v[6:7], v[16:17]
	s_delay_alu instid0(VALU_DEP_1)
	v_cmpx_ngt_f64_e32 s[60:61], v[8:9]
	s_xor_b32 s80, exec_lo, s80
	s_cbranch_execz .LBB0_194
; %bb.75:                               ;   in Loop: Header=BB0_7 Depth=1
	s_mov_b32 s81, exec_lo
	v_cmpx_ngt_f64_e32 s[66:67], v[8:9]
	s_xor_b32 s81, exec_lo, s81
	s_cbranch_execz .LBB0_191
; %bb.76:                               ;   in Loop: Header=BB0_7 Depth=1
	s_mov_b32 s82, exec_lo
	;; [unrolled: 5-line block ×22, first 2 shown]
	v_cmpx_ngt_f64_e32 s[16:17], v[8:9]
	s_xor_b32 s104, exec_lo, s104
	s_cbranch_execz .LBB0_128
; %bb.97:                               ;   in Loop: Header=BB0_7 Depth=1
	s_mov_b32 vcc_hi, exec_lo
	v_cmpx_ngt_f64_e32 s[50:51], v[8:9]
	s_xor_b32 vcc_hi, exec_lo, vcc_hi
	s_delay_alu instid0(SALU_CYCLE_1)
	v_writelane_b32 v18, vcc_hi, 0
	s_cbranch_execz .LBB0_125
; %bb.98:                               ;   in Loop: Header=BB0_7 Depth=1
	s_mov_b32 vcc_hi, exec_lo
	v_cmpx_ngt_f64_e32 s[48:49], v[8:9]
	s_xor_b32 vcc_hi, exec_lo, vcc_hi
	s_delay_alu instid0(SALU_CYCLE_1)
	v_writelane_b32 v18, vcc_hi, 1
	;; [unrolled: 7-line block ×3, first 2 shown]
	s_cbranch_execz .LBB0_119
; %bb.100:                              ;   in Loop: Header=BB0_7 Depth=1
	s_mov_b32 vcc_hi, exec_lo
	v_cmpx_ngt_f64_e32 s[44:45], v[8:9]
	s_xor_b32 vcc_hi, exec_lo, vcc_hi
	s_delay_alu instid0(SALU_CYCLE_1)
	v_writelane_b32 v18, vcc_hi, 3
	s_cbranch_execz .LBB0_116
; %bb.101:                              ;   in Loop: Header=BB0_7 Depth=1
	s_mov_b32 vcc_hi, exec_lo
	v_cmpx_ngt_f64_e32 s[42:43], v[8:9]
	s_xor_b32 vcc_hi, exec_lo, vcc_hi
	s_delay_alu instid0(SALU_CYCLE_1)
	v_writelane_b32 v18, vcc_hi, 4
	;; [unrolled: 7-line block ×4, first 2 shown]
	s_cbranch_execz .LBB0_107
; %bb.104:                              ;   in Loop: Header=BB0_7 Depth=1
	s_mov_b32 vcc_lo, exec_lo
	v_cmpx_gt_f64_e32 s[36:37], v[8:9]
; %bb.105:                              ;   in Loop: Header=BB0_7 Depth=1
	v_or_b32_e32 v11, 0x400, v11
; %bb.106:                              ;   in Loop: Header=BB0_7 Depth=1
	s_or_b32 exec_lo, exec_lo, vcc_lo
.LBB0_107:                              ;   in Loop: Header=BB0_7 Depth=1
	s_delay_alu instid0(VALU_DEP_1)
	v_readlane_b32 vcc_lo, v18, 6
	s_and_not1_saveexec_b32 vcc_lo, vcc_lo
; %bb.108:                              ;   in Loop: Header=BB0_7 Depth=1
	v_or_b32_e32 v11, 0x800, v11
; %bb.109:                              ;   in Loop: Header=BB0_7 Depth=1
	s_or_b32 exec_lo, exec_lo, vcc_lo
.LBB0_110:                              ;   in Loop: Header=BB0_7 Depth=1
	s_delay_alu instid0(VALU_DEP_1)
	v_readlane_b32 vcc_lo, v18, 5
	s_and_not1_saveexec_b32 vcc_lo, vcc_lo
; %bb.111:                              ;   in Loop: Header=BB0_7 Depth=1
	v_or_b32_e32 v11, 0xc00, v11
; %bb.112:                              ;   in Loop: Header=BB0_7 Depth=1
	s_or_b32 exec_lo, exec_lo, vcc_lo
.LBB0_113:                              ;   in Loop: Header=BB0_7 Depth=1
	s_delay_alu instid0(VALU_DEP_1)
	v_readlane_b32 vcc_lo, v18, 4
	s_and_not1_saveexec_b32 vcc_lo, vcc_lo
; %bb.114:                              ;   in Loop: Header=BB0_7 Depth=1
	v_or_b32_e32 v11, 0x1000, v11
; %bb.115:                              ;   in Loop: Header=BB0_7 Depth=1
	s_or_b32 exec_lo, exec_lo, vcc_lo
.LBB0_116:                              ;   in Loop: Header=BB0_7 Depth=1
	s_delay_alu instid0(VALU_DEP_1)
	v_readlane_b32 vcc_lo, v18, 3
	s_and_not1_saveexec_b32 vcc_lo, vcc_lo
; %bb.117:                              ;   in Loop: Header=BB0_7 Depth=1
	v_or_b32_e32 v11, 0x1400, v11
; %bb.118:                              ;   in Loop: Header=BB0_7 Depth=1
	s_or_b32 exec_lo, exec_lo, vcc_lo
.LBB0_119:                              ;   in Loop: Header=BB0_7 Depth=1
	s_delay_alu instid0(VALU_DEP_1)
	v_readlane_b32 vcc_lo, v18, 2
	s_and_not1_saveexec_b32 vcc_lo, vcc_lo
; %bb.120:                              ;   in Loop: Header=BB0_7 Depth=1
	v_or_b32_e32 v11, 0x1800, v11
; %bb.121:                              ;   in Loop: Header=BB0_7 Depth=1
	s_or_b32 exec_lo, exec_lo, vcc_lo
.LBB0_122:                              ;   in Loop: Header=BB0_7 Depth=1
	s_delay_alu instid0(VALU_DEP_1)
	v_readlane_b32 vcc_lo, v18, 1
	s_and_not1_saveexec_b32 vcc_lo, vcc_lo
; %bb.123:                              ;   in Loop: Header=BB0_7 Depth=1
	v_or_b32_e32 v11, 0x1c00, v11
; %bb.124:                              ;   in Loop: Header=BB0_7 Depth=1
	s_or_b32 exec_lo, exec_lo, vcc_lo
.LBB0_125:                              ;   in Loop: Header=BB0_7 Depth=1
	s_delay_alu instid0(VALU_DEP_1)
	v_readlane_b32 vcc_lo, v18, 0
	s_and_not1_saveexec_b32 vcc_lo, vcc_lo
; %bb.126:                              ;   in Loop: Header=BB0_7 Depth=1
	v_or_b32_e32 v11, 0x2000, v11
; %bb.127:                              ;   in Loop: Header=BB0_7 Depth=1
	s_or_b32 exec_lo, exec_lo, vcc_lo
.LBB0_128:                              ;   in Loop: Header=BB0_7 Depth=1
	s_and_not1_saveexec_b32 s104, s104
; %bb.129:                              ;   in Loop: Header=BB0_7 Depth=1
	s_delay_alu instid0(VALU_DEP_1)
	v_or_b32_e32 v11, 0x2400, v11
; %bb.130:                              ;   in Loop: Header=BB0_7 Depth=1
	s_or_b32 exec_lo, exec_lo, s104
.LBB0_131:                              ;   in Loop: Header=BB0_7 Depth=1
	s_and_not1_saveexec_b32 s101, s101
; %bb.132:                              ;   in Loop: Header=BB0_7 Depth=1
	s_delay_alu instid0(VALU_DEP_1)
	v_or_b32_e32 v11, 0x2800, v11
; %bb.133:                              ;   in Loop: Header=BB0_7 Depth=1
	s_or_b32 exec_lo, exec_lo, s101
.LBB0_134:                              ;   in Loop: Header=BB0_7 Depth=1
	s_and_not1_saveexec_b32 s100, s100
; %bb.135:                              ;   in Loop: Header=BB0_7 Depth=1
	s_delay_alu instid0(VALU_DEP_1)
	v_or_b32_e32 v11, 0x2c00, v11
; %bb.136:                              ;   in Loop: Header=BB0_7 Depth=1
	s_or_b32 exec_lo, exec_lo, s100
.LBB0_137:                              ;   in Loop: Header=BB0_7 Depth=1
	s_and_not1_saveexec_b32 s99, s99
; %bb.138:                              ;   in Loop: Header=BB0_7 Depth=1
	s_delay_alu instid0(VALU_DEP_1)
	v_or_b32_e32 v11, 0x3000, v11
; %bb.139:                              ;   in Loop: Header=BB0_7 Depth=1
	s_or_b32 exec_lo, exec_lo, s99
.LBB0_140:                              ;   in Loop: Header=BB0_7 Depth=1
	s_and_not1_saveexec_b32 s98, s98
; %bb.141:                              ;   in Loop: Header=BB0_7 Depth=1
	s_delay_alu instid0(VALU_DEP_1)
	v_or_b32_e32 v11, 0x3400, v11
; %bb.142:                              ;   in Loop: Header=BB0_7 Depth=1
	s_or_b32 exec_lo, exec_lo, s98
.LBB0_143:                              ;   in Loop: Header=BB0_7 Depth=1
	s_and_not1_saveexec_b32 s97, s97
; %bb.144:                              ;   in Loop: Header=BB0_7 Depth=1
	s_delay_alu instid0(VALU_DEP_1)
	v_or_b32_e32 v11, 0x3800, v11
; %bb.145:                              ;   in Loop: Header=BB0_7 Depth=1
	s_or_b32 exec_lo, exec_lo, s97
.LBB0_146:                              ;   in Loop: Header=BB0_7 Depth=1
	s_and_not1_saveexec_b32 s96, s96
; %bb.147:                              ;   in Loop: Header=BB0_7 Depth=1
	s_delay_alu instid0(VALU_DEP_1)
	v_or_b32_e32 v11, 0x3c00, v11
; %bb.148:                              ;   in Loop: Header=BB0_7 Depth=1
	s_or_b32 exec_lo, exec_lo, s96
.LBB0_149:                              ;   in Loop: Header=BB0_7 Depth=1
	s_and_not1_saveexec_b32 s95, s95
; %bb.150:                              ;   in Loop: Header=BB0_7 Depth=1
	s_delay_alu instid0(VALU_DEP_1)
	v_or_b32_e32 v11, 0x4000, v11
; %bb.151:                              ;   in Loop: Header=BB0_7 Depth=1
	s_or_b32 exec_lo, exec_lo, s95
.LBB0_152:                              ;   in Loop: Header=BB0_7 Depth=1
	s_and_not1_saveexec_b32 s94, s94
; %bb.153:                              ;   in Loop: Header=BB0_7 Depth=1
	s_delay_alu instid0(VALU_DEP_1)
	v_or_b32_e32 v11, 0x4400, v11
; %bb.154:                              ;   in Loop: Header=BB0_7 Depth=1
	s_or_b32 exec_lo, exec_lo, s94
.LBB0_155:                              ;   in Loop: Header=BB0_7 Depth=1
	s_and_not1_saveexec_b32 s93, s93
; %bb.156:                              ;   in Loop: Header=BB0_7 Depth=1
	s_delay_alu instid0(VALU_DEP_1)
	v_or_b32_e32 v11, 0x4800, v11
; %bb.157:                              ;   in Loop: Header=BB0_7 Depth=1
	s_or_b32 exec_lo, exec_lo, s93
.LBB0_158:                              ;   in Loop: Header=BB0_7 Depth=1
	s_and_not1_saveexec_b32 s92, s92
; %bb.159:                              ;   in Loop: Header=BB0_7 Depth=1
	s_delay_alu instid0(VALU_DEP_1)
	v_or_b32_e32 v11, 0x4c00, v11
; %bb.160:                              ;   in Loop: Header=BB0_7 Depth=1
	s_or_b32 exec_lo, exec_lo, s92
.LBB0_161:                              ;   in Loop: Header=BB0_7 Depth=1
	s_and_not1_saveexec_b32 s91, s91
; %bb.162:                              ;   in Loop: Header=BB0_7 Depth=1
	s_delay_alu instid0(VALU_DEP_1)
	v_or_b32_e32 v11, 0x5000, v11
; %bb.163:                              ;   in Loop: Header=BB0_7 Depth=1
	s_or_b32 exec_lo, exec_lo, s91
.LBB0_164:                              ;   in Loop: Header=BB0_7 Depth=1
	s_and_not1_saveexec_b32 s90, s90
; %bb.165:                              ;   in Loop: Header=BB0_7 Depth=1
	s_delay_alu instid0(VALU_DEP_1)
	v_or_b32_e32 v11, 0x5400, v11
; %bb.166:                              ;   in Loop: Header=BB0_7 Depth=1
	s_or_b32 exec_lo, exec_lo, s90
.LBB0_167:                              ;   in Loop: Header=BB0_7 Depth=1
	s_and_not1_saveexec_b32 s89, s89
; %bb.168:                              ;   in Loop: Header=BB0_7 Depth=1
	s_delay_alu instid0(VALU_DEP_1)
	v_or_b32_e32 v11, 0x5800, v11
; %bb.169:                              ;   in Loop: Header=BB0_7 Depth=1
	s_or_b32 exec_lo, exec_lo, s89
.LBB0_170:                              ;   in Loop: Header=BB0_7 Depth=1
	s_and_not1_saveexec_b32 s88, s88
; %bb.171:                              ;   in Loop: Header=BB0_7 Depth=1
	s_delay_alu instid0(VALU_DEP_1)
	v_or_b32_e32 v11, 0x5c00, v11
; %bb.172:                              ;   in Loop: Header=BB0_7 Depth=1
	s_or_b32 exec_lo, exec_lo, s88
.LBB0_173:                              ;   in Loop: Header=BB0_7 Depth=1
	s_and_not1_saveexec_b32 s87, s87
; %bb.174:                              ;   in Loop: Header=BB0_7 Depth=1
	s_delay_alu instid0(VALU_DEP_1)
	v_or_b32_e32 v11, 0x6000, v11
; %bb.175:                              ;   in Loop: Header=BB0_7 Depth=1
	s_or_b32 exec_lo, exec_lo, s87
.LBB0_176:                              ;   in Loop: Header=BB0_7 Depth=1
	s_and_not1_saveexec_b32 s86, s86
; %bb.177:                              ;   in Loop: Header=BB0_7 Depth=1
	s_delay_alu instid0(VALU_DEP_1)
	v_or_b32_e32 v11, 0x6400, v11
; %bb.178:                              ;   in Loop: Header=BB0_7 Depth=1
	s_or_b32 exec_lo, exec_lo, s86
.LBB0_179:                              ;   in Loop: Header=BB0_7 Depth=1
	s_and_not1_saveexec_b32 s85, s85
; %bb.180:                              ;   in Loop: Header=BB0_7 Depth=1
	s_delay_alu instid0(VALU_DEP_1)
	v_or_b32_e32 v11, 0x6800, v11
; %bb.181:                              ;   in Loop: Header=BB0_7 Depth=1
	s_or_b32 exec_lo, exec_lo, s85
.LBB0_182:                              ;   in Loop: Header=BB0_7 Depth=1
	s_and_not1_saveexec_b32 s84, s84
; %bb.183:                              ;   in Loop: Header=BB0_7 Depth=1
	s_delay_alu instid0(VALU_DEP_1)
	v_or_b32_e32 v11, 0x6c00, v11
; %bb.184:                              ;   in Loop: Header=BB0_7 Depth=1
	s_or_b32 exec_lo, exec_lo, s84
.LBB0_185:                              ;   in Loop: Header=BB0_7 Depth=1
	s_and_not1_saveexec_b32 s83, s83
; %bb.186:                              ;   in Loop: Header=BB0_7 Depth=1
	s_delay_alu instid0(VALU_DEP_1)
	v_or_b32_e32 v11, 0x7000, v11
; %bb.187:                              ;   in Loop: Header=BB0_7 Depth=1
	s_or_b32 exec_lo, exec_lo, s83
.LBB0_188:                              ;   in Loop: Header=BB0_7 Depth=1
	s_and_not1_saveexec_b32 s82, s82
; %bb.189:                              ;   in Loop: Header=BB0_7 Depth=1
	s_delay_alu instid0(VALU_DEP_1)
	v_or_b32_e32 v11, 0x7400, v11
; %bb.190:                              ;   in Loop: Header=BB0_7 Depth=1
	s_or_b32 exec_lo, exec_lo, s82
.LBB0_191:                              ;   in Loop: Header=BB0_7 Depth=1
	s_and_not1_saveexec_b32 s81, s81
; %bb.192:                              ;   in Loop: Header=BB0_7 Depth=1
	s_delay_alu instid0(VALU_DEP_1)
	v_or_b32_e32 v11, 0x7800, v11
; %bb.193:                              ;   in Loop: Header=BB0_7 Depth=1
	s_or_b32 exec_lo, exec_lo, s81
.LBB0_194:                              ;   in Loop: Header=BB0_7 Depth=1
	s_and_not1_saveexec_b32 s80, s80
; %bb.195:                              ;   in Loop: Header=BB0_7 Depth=1
	s_delay_alu instid0(VALU_DEP_1)
	v_or_b32_e32 v11, 0x7c00, v11
; %bb.196:                              ;   in Loop: Header=BB0_7 Depth=1
	s_or_b32 exec_lo, exec_lo, s80
.LBB0_197:                              ;   in Loop: Header=BB0_7 Depth=1
	s_delay_alu instid0(SALU_CYCLE_1) | instskip(SKIP_1) | instid1(SALU_CYCLE_1)
	s_or_b32 exec_lo, exec_lo, s63
	s_or_b32 s63, s33, 2
	v_cmp_ge_u32_e32 vcc_lo, s63, v0
	s_and_saveexec_b32 s63, vcc_lo
	s_delay_alu instid0(SALU_CYCLE_1)
	s_xor_b32 s63, exec_lo, s63
; %bb.198:                              ;   in Loop: Header=BB0_7 Depth=1
	v_add_nc_u32_e32 v11, 0x7c0000, v11
; %bb.199:                              ;   in Loop: Header=BB0_7 Depth=1
	s_and_not1_saveexec_b32 s63, s63
	s_cbranch_execz .LBB0_323
; %bb.200:                              ;   in Loop: Header=BB0_7 Depth=1
	s_add_co_i32 s80, s62, 0
	s_delay_alu instid0(SALU_CYCLE_1)
	v_mov_b32_e32 v1, s80
	s_mov_b32 s80, exec_lo
	ds_load_2addr_b64 v[12:15], v1 offset0:6 offset1:7
	ds_load_b64 v[16:17], v1 offset:64
	s_wait_dscnt 0x1
	v_mul_f64_e32 v[8:9], v[4:5], v[14:15]
	s_delay_alu instid0(VALU_DEP_1) | instskip(SKIP_1) | instid1(VALU_DEP_1)
	v_fmac_f64_e32 v[8:9], v[2:3], v[12:13]
	s_wait_dscnt 0x0
	v_fmac_f64_e32 v[8:9], v[6:7], v[16:17]
	s_delay_alu instid0(VALU_DEP_1)
	v_cmpx_ngt_f64_e32 s[60:61], v[8:9]
	s_xor_b32 s80, exec_lo, s80
	s_cbranch_execz .LBB0_320
; %bb.201:                              ;   in Loop: Header=BB0_7 Depth=1
	s_mov_b32 s81, exec_lo
	v_cmpx_ngt_f64_e32 s[66:67], v[8:9]
	s_xor_b32 s81, exec_lo, s81
	s_cbranch_execz .LBB0_317
; %bb.202:                              ;   in Loop: Header=BB0_7 Depth=1
	s_mov_b32 s82, exec_lo
	;; [unrolled: 5-line block ×22, first 2 shown]
	v_cmpx_ngt_f64_e32 s[16:17], v[8:9]
	s_xor_b32 s104, exec_lo, s104
	s_cbranch_execz .LBB0_254
; %bb.223:                              ;   in Loop: Header=BB0_7 Depth=1
	s_mov_b32 vcc_hi, exec_lo
	v_cmpx_ngt_f64_e32 s[50:51], v[8:9]
	s_xor_b32 vcc_hi, exec_lo, vcc_hi
	s_delay_alu instid0(SALU_CYCLE_1)
	v_writelane_b32 v18, vcc_hi, 0
	s_cbranch_execz .LBB0_251
; %bb.224:                              ;   in Loop: Header=BB0_7 Depth=1
	s_mov_b32 vcc_hi, exec_lo
	v_cmpx_ngt_f64_e32 s[48:49], v[8:9]
	s_xor_b32 vcc_hi, exec_lo, vcc_hi
	s_delay_alu instid0(SALU_CYCLE_1)
	v_writelane_b32 v18, vcc_hi, 1
	;; [unrolled: 7-line block ×7, first 2 shown]
	s_cbranch_execz .LBB0_233
; %bb.230:                              ;   in Loop: Header=BB0_7 Depth=1
	s_mov_b32 vcc_lo, exec_lo
	v_cmpx_gt_f64_e32 s[36:37], v[8:9]
; %bb.231:                              ;   in Loop: Header=BB0_7 Depth=1
	v_add_nc_u32_e32 v11, 0x40000, v11
; %bb.232:                              ;   in Loop: Header=BB0_7 Depth=1
	s_or_b32 exec_lo, exec_lo, vcc_lo
.LBB0_233:                              ;   in Loop: Header=BB0_7 Depth=1
	s_delay_alu instid0(VALU_DEP_1)
	v_readlane_b32 vcc_lo, v18, 6
	s_and_not1_saveexec_b32 vcc_lo, vcc_lo
; %bb.234:                              ;   in Loop: Header=BB0_7 Depth=1
	v_add_nc_u32_e32 v11, 0x80000, v11
; %bb.235:                              ;   in Loop: Header=BB0_7 Depth=1
	s_or_b32 exec_lo, exec_lo, vcc_lo
.LBB0_236:                              ;   in Loop: Header=BB0_7 Depth=1
	s_delay_alu instid0(VALU_DEP_1)
	v_readlane_b32 vcc_lo, v18, 5
	s_and_not1_saveexec_b32 vcc_lo, vcc_lo
; %bb.237:                              ;   in Loop: Header=BB0_7 Depth=1
	v_add_nc_u32_e32 v11, 0xc0000, v11
; %bb.238:                              ;   in Loop: Header=BB0_7 Depth=1
	s_or_b32 exec_lo, exec_lo, vcc_lo
.LBB0_239:                              ;   in Loop: Header=BB0_7 Depth=1
	s_delay_alu instid0(VALU_DEP_1)
	v_readlane_b32 vcc_lo, v18, 4
	s_and_not1_saveexec_b32 vcc_lo, vcc_lo
; %bb.240:                              ;   in Loop: Header=BB0_7 Depth=1
	v_add_nc_u32_e32 v11, 0x100000, v11
; %bb.241:                              ;   in Loop: Header=BB0_7 Depth=1
	s_or_b32 exec_lo, exec_lo, vcc_lo
.LBB0_242:                              ;   in Loop: Header=BB0_7 Depth=1
	s_delay_alu instid0(VALU_DEP_1)
	v_readlane_b32 vcc_lo, v18, 3
	s_and_not1_saveexec_b32 vcc_lo, vcc_lo
; %bb.243:                              ;   in Loop: Header=BB0_7 Depth=1
	v_add_nc_u32_e32 v11, 0x140000, v11
; %bb.244:                              ;   in Loop: Header=BB0_7 Depth=1
	s_or_b32 exec_lo, exec_lo, vcc_lo
.LBB0_245:                              ;   in Loop: Header=BB0_7 Depth=1
	s_delay_alu instid0(VALU_DEP_1)
	v_readlane_b32 vcc_lo, v18, 2
	s_and_not1_saveexec_b32 vcc_lo, vcc_lo
; %bb.246:                              ;   in Loop: Header=BB0_7 Depth=1
	v_add_nc_u32_e32 v11, 0x180000, v11
; %bb.247:                              ;   in Loop: Header=BB0_7 Depth=1
	s_or_b32 exec_lo, exec_lo, vcc_lo
.LBB0_248:                              ;   in Loop: Header=BB0_7 Depth=1
	s_delay_alu instid0(VALU_DEP_1)
	v_readlane_b32 vcc_lo, v18, 1
	s_and_not1_saveexec_b32 vcc_lo, vcc_lo
; %bb.249:                              ;   in Loop: Header=BB0_7 Depth=1
	v_add_nc_u32_e32 v11, 0x1c0000, v11
; %bb.250:                              ;   in Loop: Header=BB0_7 Depth=1
	s_or_b32 exec_lo, exec_lo, vcc_lo
.LBB0_251:                              ;   in Loop: Header=BB0_7 Depth=1
	s_delay_alu instid0(VALU_DEP_1)
	v_readlane_b32 vcc_lo, v18, 0
	s_and_not1_saveexec_b32 vcc_lo, vcc_lo
; %bb.252:                              ;   in Loop: Header=BB0_7 Depth=1
	v_add_nc_u32_e32 v11, 0x200000, v11
; %bb.253:                              ;   in Loop: Header=BB0_7 Depth=1
	s_or_b32 exec_lo, exec_lo, vcc_lo
.LBB0_254:                              ;   in Loop: Header=BB0_7 Depth=1
	s_and_not1_saveexec_b32 s104, s104
; %bb.255:                              ;   in Loop: Header=BB0_7 Depth=1
	s_delay_alu instid0(VALU_DEP_1)
	v_add_nc_u32_e32 v11, 0x240000, v11
; %bb.256:                              ;   in Loop: Header=BB0_7 Depth=1
	s_or_b32 exec_lo, exec_lo, s104
.LBB0_257:                              ;   in Loop: Header=BB0_7 Depth=1
	s_and_not1_saveexec_b32 s101, s101
; %bb.258:                              ;   in Loop: Header=BB0_7 Depth=1
	s_delay_alu instid0(VALU_DEP_1)
	v_add_nc_u32_e32 v11, 0x280000, v11
; %bb.259:                              ;   in Loop: Header=BB0_7 Depth=1
	s_or_b32 exec_lo, exec_lo, s101
.LBB0_260:                              ;   in Loop: Header=BB0_7 Depth=1
	s_and_not1_saveexec_b32 s100, s100
; %bb.261:                              ;   in Loop: Header=BB0_7 Depth=1
	s_delay_alu instid0(VALU_DEP_1)
	v_add_nc_u32_e32 v11, 0x2c0000, v11
; %bb.262:                              ;   in Loop: Header=BB0_7 Depth=1
	s_or_b32 exec_lo, exec_lo, s100
.LBB0_263:                              ;   in Loop: Header=BB0_7 Depth=1
	s_and_not1_saveexec_b32 s99, s99
; %bb.264:                              ;   in Loop: Header=BB0_7 Depth=1
	s_delay_alu instid0(VALU_DEP_1)
	v_add_nc_u32_e32 v11, 0x300000, v11
; %bb.265:                              ;   in Loop: Header=BB0_7 Depth=1
	s_or_b32 exec_lo, exec_lo, s99
.LBB0_266:                              ;   in Loop: Header=BB0_7 Depth=1
	s_and_not1_saveexec_b32 s98, s98
; %bb.267:                              ;   in Loop: Header=BB0_7 Depth=1
	s_delay_alu instid0(VALU_DEP_1)
	v_add_nc_u32_e32 v11, 0x340000, v11
; %bb.268:                              ;   in Loop: Header=BB0_7 Depth=1
	s_or_b32 exec_lo, exec_lo, s98
.LBB0_269:                              ;   in Loop: Header=BB0_7 Depth=1
	s_and_not1_saveexec_b32 s97, s97
; %bb.270:                              ;   in Loop: Header=BB0_7 Depth=1
	s_delay_alu instid0(VALU_DEP_1)
	v_add_nc_u32_e32 v11, 0x380000, v11
; %bb.271:                              ;   in Loop: Header=BB0_7 Depth=1
	s_or_b32 exec_lo, exec_lo, s97
.LBB0_272:                              ;   in Loop: Header=BB0_7 Depth=1
	s_and_not1_saveexec_b32 s96, s96
; %bb.273:                              ;   in Loop: Header=BB0_7 Depth=1
	s_delay_alu instid0(VALU_DEP_1)
	v_add_nc_u32_e32 v11, 0x3c0000, v11
; %bb.274:                              ;   in Loop: Header=BB0_7 Depth=1
	s_or_b32 exec_lo, exec_lo, s96
.LBB0_275:                              ;   in Loop: Header=BB0_7 Depth=1
	s_and_not1_saveexec_b32 s95, s95
; %bb.276:                              ;   in Loop: Header=BB0_7 Depth=1
	s_delay_alu instid0(VALU_DEP_1)
	v_add_nc_u32_e32 v11, 0x400000, v11
; %bb.277:                              ;   in Loop: Header=BB0_7 Depth=1
	s_or_b32 exec_lo, exec_lo, s95
.LBB0_278:                              ;   in Loop: Header=BB0_7 Depth=1
	s_and_not1_saveexec_b32 s94, s94
; %bb.279:                              ;   in Loop: Header=BB0_7 Depth=1
	s_delay_alu instid0(VALU_DEP_1)
	v_add_nc_u32_e32 v11, 0x440000, v11
; %bb.280:                              ;   in Loop: Header=BB0_7 Depth=1
	s_or_b32 exec_lo, exec_lo, s94
.LBB0_281:                              ;   in Loop: Header=BB0_7 Depth=1
	s_and_not1_saveexec_b32 s93, s93
; %bb.282:                              ;   in Loop: Header=BB0_7 Depth=1
	s_delay_alu instid0(VALU_DEP_1)
	v_add_nc_u32_e32 v11, 0x480000, v11
; %bb.283:                              ;   in Loop: Header=BB0_7 Depth=1
	s_or_b32 exec_lo, exec_lo, s93
.LBB0_284:                              ;   in Loop: Header=BB0_7 Depth=1
	s_and_not1_saveexec_b32 s92, s92
; %bb.285:                              ;   in Loop: Header=BB0_7 Depth=1
	s_delay_alu instid0(VALU_DEP_1)
	v_add_nc_u32_e32 v11, 0x4c0000, v11
; %bb.286:                              ;   in Loop: Header=BB0_7 Depth=1
	s_or_b32 exec_lo, exec_lo, s92
.LBB0_287:                              ;   in Loop: Header=BB0_7 Depth=1
	s_and_not1_saveexec_b32 s91, s91
; %bb.288:                              ;   in Loop: Header=BB0_7 Depth=1
	s_delay_alu instid0(VALU_DEP_1)
	v_add_nc_u32_e32 v11, 0x500000, v11
; %bb.289:                              ;   in Loop: Header=BB0_7 Depth=1
	s_or_b32 exec_lo, exec_lo, s91
.LBB0_290:                              ;   in Loop: Header=BB0_7 Depth=1
	s_and_not1_saveexec_b32 s90, s90
; %bb.291:                              ;   in Loop: Header=BB0_7 Depth=1
	s_delay_alu instid0(VALU_DEP_1)
	v_add_nc_u32_e32 v11, 0x540000, v11
; %bb.292:                              ;   in Loop: Header=BB0_7 Depth=1
	s_or_b32 exec_lo, exec_lo, s90
.LBB0_293:                              ;   in Loop: Header=BB0_7 Depth=1
	s_and_not1_saveexec_b32 s89, s89
; %bb.294:                              ;   in Loop: Header=BB0_7 Depth=1
	s_delay_alu instid0(VALU_DEP_1)
	v_add_nc_u32_e32 v11, 0x580000, v11
; %bb.295:                              ;   in Loop: Header=BB0_7 Depth=1
	s_or_b32 exec_lo, exec_lo, s89
.LBB0_296:                              ;   in Loop: Header=BB0_7 Depth=1
	s_and_not1_saveexec_b32 s88, s88
; %bb.297:                              ;   in Loop: Header=BB0_7 Depth=1
	s_delay_alu instid0(VALU_DEP_1)
	v_add_nc_u32_e32 v11, 0x5c0000, v11
; %bb.298:                              ;   in Loop: Header=BB0_7 Depth=1
	s_or_b32 exec_lo, exec_lo, s88
.LBB0_299:                              ;   in Loop: Header=BB0_7 Depth=1
	s_and_not1_saveexec_b32 s87, s87
; %bb.300:                              ;   in Loop: Header=BB0_7 Depth=1
	s_delay_alu instid0(VALU_DEP_1)
	v_add_nc_u32_e32 v11, 0x600000, v11
; %bb.301:                              ;   in Loop: Header=BB0_7 Depth=1
	s_or_b32 exec_lo, exec_lo, s87
.LBB0_302:                              ;   in Loop: Header=BB0_7 Depth=1
	s_and_not1_saveexec_b32 s86, s86
; %bb.303:                              ;   in Loop: Header=BB0_7 Depth=1
	s_delay_alu instid0(VALU_DEP_1)
	v_add_nc_u32_e32 v11, 0x640000, v11
; %bb.304:                              ;   in Loop: Header=BB0_7 Depth=1
	s_or_b32 exec_lo, exec_lo, s86
.LBB0_305:                              ;   in Loop: Header=BB0_7 Depth=1
	s_and_not1_saveexec_b32 s85, s85
; %bb.306:                              ;   in Loop: Header=BB0_7 Depth=1
	s_delay_alu instid0(VALU_DEP_1)
	v_add_nc_u32_e32 v11, 0x680000, v11
; %bb.307:                              ;   in Loop: Header=BB0_7 Depth=1
	s_or_b32 exec_lo, exec_lo, s85
.LBB0_308:                              ;   in Loop: Header=BB0_7 Depth=1
	s_and_not1_saveexec_b32 s84, s84
; %bb.309:                              ;   in Loop: Header=BB0_7 Depth=1
	s_delay_alu instid0(VALU_DEP_1)
	v_add_nc_u32_e32 v11, 0x6c0000, v11
; %bb.310:                              ;   in Loop: Header=BB0_7 Depth=1
	s_or_b32 exec_lo, exec_lo, s84
.LBB0_311:                              ;   in Loop: Header=BB0_7 Depth=1
	s_and_not1_saveexec_b32 s83, s83
; %bb.312:                              ;   in Loop: Header=BB0_7 Depth=1
	s_delay_alu instid0(VALU_DEP_1)
	v_add_nc_u32_e32 v11, 0x700000, v11
; %bb.313:                              ;   in Loop: Header=BB0_7 Depth=1
	s_or_b32 exec_lo, exec_lo, s83
.LBB0_314:                              ;   in Loop: Header=BB0_7 Depth=1
	s_and_not1_saveexec_b32 s82, s82
; %bb.315:                              ;   in Loop: Header=BB0_7 Depth=1
	s_delay_alu instid0(VALU_DEP_1)
	v_add_nc_u32_e32 v11, 0x740000, v11
; %bb.316:                              ;   in Loop: Header=BB0_7 Depth=1
	s_or_b32 exec_lo, exec_lo, s82
.LBB0_317:                              ;   in Loop: Header=BB0_7 Depth=1
	s_and_not1_saveexec_b32 s81, s81
; %bb.318:                              ;   in Loop: Header=BB0_7 Depth=1
	s_delay_alu instid0(VALU_DEP_1)
	v_add_nc_u32_e32 v11, 0x780000, v11
; %bb.319:                              ;   in Loop: Header=BB0_7 Depth=1
	s_or_b32 exec_lo, exec_lo, s81
.LBB0_320:                              ;   in Loop: Header=BB0_7 Depth=1
	s_and_not1_saveexec_b32 s80, s80
; %bb.321:                              ;   in Loop: Header=BB0_7 Depth=1
	s_delay_alu instid0(VALU_DEP_1)
	v_add_nc_u32_e32 v11, 0x7c0000, v11
; %bb.322:                              ;   in Loop: Header=BB0_7 Depth=1
	s_or_b32 exec_lo, exec_lo, s80
.LBB0_323:                              ;   in Loop: Header=BB0_7 Depth=1
	s_delay_alu instid0(SALU_CYCLE_1) | instskip(SKIP_1) | instid1(SALU_CYCLE_1)
	s_or_b32 exec_lo, exec_lo, s63
	s_or_b32 s63, s33, 3
	v_cmp_ge_u32_e32 vcc_lo, s63, v0
	s_and_saveexec_b32 s63, vcc_lo
	s_delay_alu instid0(SALU_CYCLE_1)
	s_xor_b32 s63, exec_lo, s63
; %bb.324:                              ;   in Loop: Header=BB0_7 Depth=1
	v_add_nc_u32_e32 v11, 0x7c000000, v11
; %bb.325:                              ;   in Loop: Header=BB0_7 Depth=1
	s_and_not1_saveexec_b32 s63, s63
	s_cbranch_execz .LBB0_449
; %bb.326:                              ;   in Loop: Header=BB0_7 Depth=1
	s_add_co_i32 s80, s62, 0
	s_delay_alu instid0(SALU_CYCLE_1)
	v_mov_b32_e32 v1, s80
	s_mov_b32 s80, exec_lo
	ds_load_2addr_b64 v[12:15], v1 offset0:9 offset1:10
	ds_load_b64 v[16:17], v1 offset:88
	s_wait_dscnt 0x1
	v_mul_f64_e32 v[8:9], v[4:5], v[14:15]
	s_delay_alu instid0(VALU_DEP_1) | instskip(SKIP_1) | instid1(VALU_DEP_1)
	v_fmac_f64_e32 v[8:9], v[2:3], v[12:13]
	s_wait_dscnt 0x0
	v_fmac_f64_e32 v[8:9], v[6:7], v[16:17]
	s_delay_alu instid0(VALU_DEP_1)
	v_cmpx_ngt_f64_e32 s[60:61], v[8:9]
	s_xor_b32 s80, exec_lo, s80
	s_cbranch_execz .LBB0_446
; %bb.327:                              ;   in Loop: Header=BB0_7 Depth=1
	s_mov_b32 s81, exec_lo
	v_cmpx_ngt_f64_e32 s[66:67], v[8:9]
	s_xor_b32 s81, exec_lo, s81
	s_cbranch_execz .LBB0_443
; %bb.328:                              ;   in Loop: Header=BB0_7 Depth=1
	s_mov_b32 s82, exec_lo
	;; [unrolled: 5-line block ×22, first 2 shown]
	v_cmpx_ngt_f64_e32 s[16:17], v[8:9]
	s_xor_b32 s104, exec_lo, s104
	s_cbranch_execz .LBB0_380
; %bb.349:                              ;   in Loop: Header=BB0_7 Depth=1
	s_mov_b32 vcc_hi, exec_lo
	v_cmpx_ngt_f64_e32 s[50:51], v[8:9]
	s_xor_b32 vcc_hi, exec_lo, vcc_hi
	s_delay_alu instid0(SALU_CYCLE_1)
	v_writelane_b32 v18, vcc_hi, 0
	s_cbranch_execz .LBB0_377
; %bb.350:                              ;   in Loop: Header=BB0_7 Depth=1
	s_mov_b32 vcc_hi, exec_lo
	v_cmpx_ngt_f64_e32 s[48:49], v[8:9]
	s_xor_b32 vcc_hi, exec_lo, vcc_hi
	s_delay_alu instid0(SALU_CYCLE_1)
	v_writelane_b32 v18, vcc_hi, 1
	s_cbranch_execz .LBB0_374
; %bb.351:                              ;   in Loop: Header=BB0_7 Depth=1
	s_mov_b32 vcc_hi, exec_lo
	v_cmpx_ngt_f64_e32 s[46:47], v[8:9]
	s_xor_b32 vcc_hi, exec_lo, vcc_hi
	s_delay_alu instid0(SALU_CYCLE_1)
	v_writelane_b32 v18, vcc_hi, 2
	s_cbranch_execz .LBB0_371
; %bb.352:                              ;   in Loop: Header=BB0_7 Depth=1
	s_mov_b32 vcc_hi, exec_lo
	v_cmpx_ngt_f64_e32 s[44:45], v[8:9]
	s_xor_b32 vcc_hi, exec_lo, vcc_hi
	s_delay_alu instid0(SALU_CYCLE_1)
	v_writelane_b32 v18, vcc_hi, 3
	s_cbranch_execz .LBB0_368
; %bb.353:                              ;   in Loop: Header=BB0_7 Depth=1
	s_mov_b32 vcc_hi, exec_lo
	v_cmpx_ngt_f64_e32 s[42:43], v[8:9]
	s_xor_b32 vcc_hi, exec_lo, vcc_hi
	s_delay_alu instid0(SALU_CYCLE_1)
	v_writelane_b32 v18, vcc_hi, 4
	s_cbranch_execz .LBB0_365
; %bb.354:                              ;   in Loop: Header=BB0_7 Depth=1
	s_mov_b32 vcc_hi, exec_lo
	v_cmpx_ngt_f64_e32 s[40:41], v[8:9]
	s_xor_b32 vcc_hi, exec_lo, vcc_hi
	s_delay_alu instid0(SALU_CYCLE_1)
	v_writelane_b32 v18, vcc_hi, 5
	s_cbranch_execz .LBB0_362
; %bb.355:                              ;   in Loop: Header=BB0_7 Depth=1
	s_mov_b32 vcc_hi, exec_lo
	v_cmpx_ngt_f64_e32 s[38:39], v[8:9]
	s_xor_b32 vcc_hi, exec_lo, vcc_hi
	s_delay_alu instid0(SALU_CYCLE_1)
	v_writelane_b32 v18, vcc_hi, 6
	s_cbranch_execz .LBB0_359
; %bb.356:                              ;   in Loop: Header=BB0_7 Depth=1
	s_mov_b32 vcc_lo, exec_lo
	v_cmpx_gt_f64_e32 s[36:37], v[8:9]
; %bb.357:                              ;   in Loop: Header=BB0_7 Depth=1
	v_add_nc_u32_e32 v11, 0x4000000, v11
; %bb.358:                              ;   in Loop: Header=BB0_7 Depth=1
	s_or_b32 exec_lo, exec_lo, vcc_lo
.LBB0_359:                              ;   in Loop: Header=BB0_7 Depth=1
	s_delay_alu instid0(VALU_DEP_1)
	v_readlane_b32 vcc_lo, v18, 6
	s_and_not1_saveexec_b32 vcc_lo, vcc_lo
; %bb.360:                              ;   in Loop: Header=BB0_7 Depth=1
	v_add_nc_u32_e32 v11, 0x8000000, v11
; %bb.361:                              ;   in Loop: Header=BB0_7 Depth=1
	s_or_b32 exec_lo, exec_lo, vcc_lo
.LBB0_362:                              ;   in Loop: Header=BB0_7 Depth=1
	s_delay_alu instid0(VALU_DEP_1)
	v_readlane_b32 vcc_lo, v18, 5
	s_and_not1_saveexec_b32 vcc_lo, vcc_lo
; %bb.363:                              ;   in Loop: Header=BB0_7 Depth=1
	v_add_nc_u32_e32 v11, 0xc000000, v11
; %bb.364:                              ;   in Loop: Header=BB0_7 Depth=1
	s_or_b32 exec_lo, exec_lo, vcc_lo
.LBB0_365:                              ;   in Loop: Header=BB0_7 Depth=1
	s_delay_alu instid0(VALU_DEP_1)
	v_readlane_b32 vcc_lo, v18, 4
	s_and_not1_saveexec_b32 vcc_lo, vcc_lo
; %bb.366:                              ;   in Loop: Header=BB0_7 Depth=1
	v_add_nc_u32_e32 v11, 0x10000000, v11
; %bb.367:                              ;   in Loop: Header=BB0_7 Depth=1
	s_or_b32 exec_lo, exec_lo, vcc_lo
.LBB0_368:                              ;   in Loop: Header=BB0_7 Depth=1
	s_delay_alu instid0(VALU_DEP_1)
	v_readlane_b32 vcc_lo, v18, 3
	s_and_not1_saveexec_b32 vcc_lo, vcc_lo
; %bb.369:                              ;   in Loop: Header=BB0_7 Depth=1
	v_add_nc_u32_e32 v11, 0x14000000, v11
; %bb.370:                              ;   in Loop: Header=BB0_7 Depth=1
	s_or_b32 exec_lo, exec_lo, vcc_lo
.LBB0_371:                              ;   in Loop: Header=BB0_7 Depth=1
	s_delay_alu instid0(VALU_DEP_1)
	v_readlane_b32 vcc_lo, v18, 2
	s_and_not1_saveexec_b32 vcc_lo, vcc_lo
; %bb.372:                              ;   in Loop: Header=BB0_7 Depth=1
	v_add_nc_u32_e32 v11, 0x18000000, v11
; %bb.373:                              ;   in Loop: Header=BB0_7 Depth=1
	s_or_b32 exec_lo, exec_lo, vcc_lo
.LBB0_374:                              ;   in Loop: Header=BB0_7 Depth=1
	s_delay_alu instid0(VALU_DEP_1)
	v_readlane_b32 vcc_lo, v18, 1
	s_and_not1_saveexec_b32 vcc_lo, vcc_lo
; %bb.375:                              ;   in Loop: Header=BB0_7 Depth=1
	v_add_nc_u32_e32 v11, 0x1c000000, v11
; %bb.376:                              ;   in Loop: Header=BB0_7 Depth=1
	s_or_b32 exec_lo, exec_lo, vcc_lo
.LBB0_377:                              ;   in Loop: Header=BB0_7 Depth=1
	s_delay_alu instid0(VALU_DEP_1)
	v_readlane_b32 vcc_lo, v18, 0
	s_and_not1_saveexec_b32 vcc_lo, vcc_lo
; %bb.378:                              ;   in Loop: Header=BB0_7 Depth=1
	v_add_nc_u32_e32 v11, 0x20000000, v11
; %bb.379:                              ;   in Loop: Header=BB0_7 Depth=1
	s_or_b32 exec_lo, exec_lo, vcc_lo
.LBB0_380:                              ;   in Loop: Header=BB0_7 Depth=1
	s_and_not1_saveexec_b32 s104, s104
; %bb.381:                              ;   in Loop: Header=BB0_7 Depth=1
	s_delay_alu instid0(VALU_DEP_1)
	v_add_nc_u32_e32 v11, 0x24000000, v11
; %bb.382:                              ;   in Loop: Header=BB0_7 Depth=1
	s_or_b32 exec_lo, exec_lo, s104
.LBB0_383:                              ;   in Loop: Header=BB0_7 Depth=1
	s_and_not1_saveexec_b32 s101, s101
; %bb.384:                              ;   in Loop: Header=BB0_7 Depth=1
	s_delay_alu instid0(VALU_DEP_1)
	v_add_nc_u32_e32 v11, 0x28000000, v11
; %bb.385:                              ;   in Loop: Header=BB0_7 Depth=1
	s_or_b32 exec_lo, exec_lo, s101
.LBB0_386:                              ;   in Loop: Header=BB0_7 Depth=1
	s_and_not1_saveexec_b32 s100, s100
; %bb.387:                              ;   in Loop: Header=BB0_7 Depth=1
	s_delay_alu instid0(VALU_DEP_1)
	v_add_nc_u32_e32 v11, 0x2c000000, v11
; %bb.388:                              ;   in Loop: Header=BB0_7 Depth=1
	s_or_b32 exec_lo, exec_lo, s100
.LBB0_389:                              ;   in Loop: Header=BB0_7 Depth=1
	s_and_not1_saveexec_b32 s99, s99
; %bb.390:                              ;   in Loop: Header=BB0_7 Depth=1
	s_delay_alu instid0(VALU_DEP_1)
	v_add_nc_u32_e32 v11, 0x30000000, v11
; %bb.391:                              ;   in Loop: Header=BB0_7 Depth=1
	s_or_b32 exec_lo, exec_lo, s99
.LBB0_392:                              ;   in Loop: Header=BB0_7 Depth=1
	s_and_not1_saveexec_b32 s98, s98
; %bb.393:                              ;   in Loop: Header=BB0_7 Depth=1
	s_delay_alu instid0(VALU_DEP_1)
	v_add_nc_u32_e32 v11, 0x34000000, v11
; %bb.394:                              ;   in Loop: Header=BB0_7 Depth=1
	s_or_b32 exec_lo, exec_lo, s98
.LBB0_395:                              ;   in Loop: Header=BB0_7 Depth=1
	s_and_not1_saveexec_b32 s97, s97
; %bb.396:                              ;   in Loop: Header=BB0_7 Depth=1
	s_delay_alu instid0(VALU_DEP_1)
	v_add_nc_u32_e32 v11, 0x38000000, v11
; %bb.397:                              ;   in Loop: Header=BB0_7 Depth=1
	s_or_b32 exec_lo, exec_lo, s97
.LBB0_398:                              ;   in Loop: Header=BB0_7 Depth=1
	s_and_not1_saveexec_b32 s96, s96
; %bb.399:                              ;   in Loop: Header=BB0_7 Depth=1
	s_delay_alu instid0(VALU_DEP_1)
	v_add_nc_u32_e32 v11, 0x3c000000, v11
; %bb.400:                              ;   in Loop: Header=BB0_7 Depth=1
	s_or_b32 exec_lo, exec_lo, s96
.LBB0_401:                              ;   in Loop: Header=BB0_7 Depth=1
	s_and_not1_saveexec_b32 s95, s95
; %bb.402:                              ;   in Loop: Header=BB0_7 Depth=1
	s_delay_alu instid0(VALU_DEP_1)
	v_add_nc_u32_e32 v11, 2.0, v11
; %bb.403:                              ;   in Loop: Header=BB0_7 Depth=1
	s_or_b32 exec_lo, exec_lo, s95
.LBB0_404:                              ;   in Loop: Header=BB0_7 Depth=1
	s_and_not1_saveexec_b32 s94, s94
; %bb.405:                              ;   in Loop: Header=BB0_7 Depth=1
	s_delay_alu instid0(VALU_DEP_1)
	v_add_nc_u32_e32 v11, 0x44000000, v11
; %bb.406:                              ;   in Loop: Header=BB0_7 Depth=1
	s_or_b32 exec_lo, exec_lo, s94
.LBB0_407:                              ;   in Loop: Header=BB0_7 Depth=1
	s_and_not1_saveexec_b32 s93, s93
; %bb.408:                              ;   in Loop: Header=BB0_7 Depth=1
	s_delay_alu instid0(VALU_DEP_1)
	v_add_nc_u32_e32 v11, 0x48000000, v11
; %bb.409:                              ;   in Loop: Header=BB0_7 Depth=1
	s_or_b32 exec_lo, exec_lo, s93
.LBB0_410:                              ;   in Loop: Header=BB0_7 Depth=1
	s_and_not1_saveexec_b32 s92, s92
; %bb.411:                              ;   in Loop: Header=BB0_7 Depth=1
	s_delay_alu instid0(VALU_DEP_1)
	v_add_nc_u32_e32 v11, 0x4c000000, v11
; %bb.412:                              ;   in Loop: Header=BB0_7 Depth=1
	s_or_b32 exec_lo, exec_lo, s92
.LBB0_413:                              ;   in Loop: Header=BB0_7 Depth=1
	s_and_not1_saveexec_b32 s91, s91
; %bb.414:                              ;   in Loop: Header=BB0_7 Depth=1
	s_delay_alu instid0(VALU_DEP_1)
	v_add_nc_u32_e32 v11, 0x50000000, v11
; %bb.415:                              ;   in Loop: Header=BB0_7 Depth=1
	s_or_b32 exec_lo, exec_lo, s91
.LBB0_416:                              ;   in Loop: Header=BB0_7 Depth=1
	s_and_not1_saveexec_b32 s90, s90
; %bb.417:                              ;   in Loop: Header=BB0_7 Depth=1
	s_delay_alu instid0(VALU_DEP_1)
	v_add_nc_u32_e32 v11, 0x54000000, v11
; %bb.418:                              ;   in Loop: Header=BB0_7 Depth=1
	s_or_b32 exec_lo, exec_lo, s90
.LBB0_419:                              ;   in Loop: Header=BB0_7 Depth=1
	s_and_not1_saveexec_b32 s89, s89
; %bb.420:                              ;   in Loop: Header=BB0_7 Depth=1
	s_delay_alu instid0(VALU_DEP_1)
	v_add_nc_u32_e32 v11, 0x58000000, v11
; %bb.421:                              ;   in Loop: Header=BB0_7 Depth=1
	s_or_b32 exec_lo, exec_lo, s89
.LBB0_422:                              ;   in Loop: Header=BB0_7 Depth=1
	s_and_not1_saveexec_b32 s88, s88
; %bb.423:                              ;   in Loop: Header=BB0_7 Depth=1
	s_delay_alu instid0(VALU_DEP_1)
	v_add_nc_u32_e32 v11, 0x5c000000, v11
; %bb.424:                              ;   in Loop: Header=BB0_7 Depth=1
	s_or_b32 exec_lo, exec_lo, s88
.LBB0_425:                              ;   in Loop: Header=BB0_7 Depth=1
	s_and_not1_saveexec_b32 s87, s87
; %bb.426:                              ;   in Loop: Header=BB0_7 Depth=1
	s_delay_alu instid0(VALU_DEP_1)
	v_add_nc_u32_e32 v11, 0x60000000, v11
; %bb.427:                              ;   in Loop: Header=BB0_7 Depth=1
	s_or_b32 exec_lo, exec_lo, s87
.LBB0_428:                              ;   in Loop: Header=BB0_7 Depth=1
	s_and_not1_saveexec_b32 s86, s86
; %bb.429:                              ;   in Loop: Header=BB0_7 Depth=1
	s_delay_alu instid0(VALU_DEP_1)
	v_add_nc_u32_e32 v11, 0x64000000, v11
; %bb.430:                              ;   in Loop: Header=BB0_7 Depth=1
	s_or_b32 exec_lo, exec_lo, s86
.LBB0_431:                              ;   in Loop: Header=BB0_7 Depth=1
	s_and_not1_saveexec_b32 s85, s85
; %bb.432:                              ;   in Loop: Header=BB0_7 Depth=1
	s_delay_alu instid0(VALU_DEP_1)
	v_add_nc_u32_e32 v11, 0x68000000, v11
; %bb.433:                              ;   in Loop: Header=BB0_7 Depth=1
	s_or_b32 exec_lo, exec_lo, s85
.LBB0_434:                              ;   in Loop: Header=BB0_7 Depth=1
	s_and_not1_saveexec_b32 s84, s84
; %bb.435:                              ;   in Loop: Header=BB0_7 Depth=1
	s_delay_alu instid0(VALU_DEP_1)
	v_add_nc_u32_e32 v11, 0x6c000000, v11
; %bb.436:                              ;   in Loop: Header=BB0_7 Depth=1
	s_or_b32 exec_lo, exec_lo, s84
.LBB0_437:                              ;   in Loop: Header=BB0_7 Depth=1
	s_and_not1_saveexec_b32 s83, s83
; %bb.438:                              ;   in Loop: Header=BB0_7 Depth=1
	s_delay_alu instid0(VALU_DEP_1)
	v_add_nc_u32_e32 v11, 0x70000000, v11
; %bb.439:                              ;   in Loop: Header=BB0_7 Depth=1
	s_or_b32 exec_lo, exec_lo, s83
.LBB0_440:                              ;   in Loop: Header=BB0_7 Depth=1
	s_and_not1_saveexec_b32 s82, s82
; %bb.441:                              ;   in Loop: Header=BB0_7 Depth=1
	s_delay_alu instid0(VALU_DEP_1)
	v_add_nc_u32_e32 v11, 0x74000000, v11
; %bb.442:                              ;   in Loop: Header=BB0_7 Depth=1
	s_or_b32 exec_lo, exec_lo, s82
.LBB0_443:                              ;   in Loop: Header=BB0_7 Depth=1
	s_and_not1_saveexec_b32 s81, s81
; %bb.444:                              ;   in Loop: Header=BB0_7 Depth=1
	s_delay_alu instid0(VALU_DEP_1)
	v_add_nc_u32_e32 v11, 0x78000000, v11
; %bb.445:                              ;   in Loop: Header=BB0_7 Depth=1
	s_or_b32 exec_lo, exec_lo, s81
.LBB0_446:                              ;   in Loop: Header=BB0_7 Depth=1
	s_and_not1_saveexec_b32 s80, s80
; %bb.447:                              ;   in Loop: Header=BB0_7 Depth=1
	s_delay_alu instid0(VALU_DEP_1)
	v_add_nc_u32_e32 v11, 0x7c000000, v11
; %bb.448:                              ;   in Loop: Header=BB0_7 Depth=1
	s_or_b32 exec_lo, exec_lo, s80
.LBB0_449:                              ;   in Loop: Header=BB0_7 Depth=1
	s_delay_alu instid0(SALU_CYCLE_1)
	s_or_b32 exec_lo, exec_lo, s63
	v_lshl_add_u32 v8, s33, 12, v10
	v_mov_b32_e32 v1, 0x7c
	s_or_b32 s63, s33, 4
	s_mov_b32 s80, exec_lo
	global_store_b32 v8, v11, s[34:35] scale_offset
	s_wait_xcnt 0x0
	v_cmpx_lt_u32_e64 s63, v0
	s_cbranch_execz .LBB0_513
; %bb.450:                              ;   in Loop: Header=BB0_7 Depth=1
	s_add_co_i32 s81, s62, 0
	s_delay_alu instid0(SALU_CYCLE_1)
	v_mov_b32_e32 v1, s81
	s_mov_b32 s81, exec_lo
	ds_load_2addr_b64 v[12:15], v1 offset0:12 offset1:13
	ds_load_b64 v[16:17], v1 offset:112
	v_mov_b32_e32 v1, 0x7c
	s_wait_dscnt 0x1
	v_mul_f64_e32 v[8:9], v[4:5], v[14:15]
	s_delay_alu instid0(VALU_DEP_1) | instskip(SKIP_1) | instid1(VALU_DEP_1)
	v_fmac_f64_e32 v[8:9], v[2:3], v[12:13]
	s_wait_dscnt 0x0
	v_fmac_f64_e32 v[8:9], v[6:7], v[16:17]
	s_delay_alu instid0(VALU_DEP_1)
	v_cmpx_ngt_f64_e32 s[60:61], v[8:9]
	s_cbranch_execz .LBB0_512
; %bb.451:                              ;   in Loop: Header=BB0_7 Depth=1
	v_mov_b32_e32 v1, 0x78
	s_mov_b32 s82, exec_lo
	v_cmpx_ngt_f64_e32 s[66:67], v[8:9]
	s_cbranch_execz .LBB0_511
; %bb.452:                              ;   in Loop: Header=BB0_7 Depth=1
	v_mov_b32_e32 v1, 0x74
	s_mov_b32 s83, exec_lo
	;; [unrolled: 5-line block ×21, first 2 shown]
	v_cmpx_ngt_f64_e32 s[18:19], v[8:9]
	s_cbranch_execz .LBB0_491
; %bb.472:                              ;   in Loop: Header=BB0_7 Depth=1
	v_mov_b32_e32 v1, 36
	v_cmp_ngt_f64_e32 vcc_lo, s[16:17], v[8:9]
	s_mov_b32 vcc_hi, exec_lo
	s_delay_alu instid0(SALU_CYCLE_1)
	s_and_b32 vcc_lo, vcc_hi, vcc_lo
	v_writelane_b32 v18, vcc_hi, 0
	s_mov_b32 exec_lo, vcc_lo
	s_cbranch_execz .LBB0_490
; %bb.473:                              ;   in Loop: Header=BB0_7 Depth=1
	v_mov_b32_e32 v1, 32
	v_cmp_ngt_f64_e32 vcc_lo, s[50:51], v[8:9]
	s_mov_b32 vcc_hi, exec_lo
	s_delay_alu instid0(SALU_CYCLE_1)
	s_and_b32 vcc_lo, vcc_hi, vcc_lo
	v_writelane_b32 v18, vcc_hi, 1
	s_mov_b32 exec_lo, vcc_lo
	;; [unrolled: 9-line block ×8, first 2 shown]
	s_cbranch_execz .LBB0_483
; %bb.480:                              ;   in Loop: Header=BB0_7 Depth=1
	v_mov_b32_e32 v1, 0
	s_mov_b32 vcc_hi, exec_lo
	v_cmpx_gt_f64_e32 s[36:37], v[8:9]
; %bb.481:                              ;   in Loop: Header=BB0_7 Depth=1
	v_mov_b32_e32 v1, 4
; %bb.482:                              ;   in Loop: Header=BB0_7 Depth=1
	s_or_b32 exec_lo, exec_lo, vcc_hi
.LBB0_483:                              ;   in Loop: Header=BB0_7 Depth=1
	s_delay_alu instid0(VALU_DEP_1)
	v_readlane_b32 vcc_lo, v18, 8
	s_or_b32 exec_lo, exec_lo, vcc_lo
.LBB0_484:                              ;   in Loop: Header=BB0_7 Depth=1
	s_delay_alu instid0(VALU_DEP_1)
	v_readlane_b32 vcc_lo, v18, 6
	s_or_b32 exec_lo, exec_lo, vcc_lo
.LBB0_485:                              ;   in Loop: Header=BB0_7 Depth=1
	s_delay_alu instid0(VALU_DEP_1)
	v_readlane_b32 vcc_lo, v18, 5
	s_or_b32 exec_lo, exec_lo, vcc_lo
.LBB0_486:                              ;   in Loop: Header=BB0_7 Depth=1
	s_delay_alu instid0(VALU_DEP_1)
	v_readlane_b32 vcc_lo, v18, 4
	s_or_b32 exec_lo, exec_lo, vcc_lo
.LBB0_487:                              ;   in Loop: Header=BB0_7 Depth=1
	s_delay_alu instid0(VALU_DEP_1)
	v_readlane_b32 vcc_lo, v18, 3
	s_or_b32 exec_lo, exec_lo, vcc_lo
.LBB0_488:                              ;   in Loop: Header=BB0_7 Depth=1
	s_delay_alu instid0(VALU_DEP_1)
	v_readlane_b32 vcc_lo, v18, 2
	s_or_b32 exec_lo, exec_lo, vcc_lo
.LBB0_489:                              ;   in Loop: Header=BB0_7 Depth=1
	s_delay_alu instid0(VALU_DEP_1)
	v_readlane_b32 vcc_lo, v18, 1
	s_or_b32 exec_lo, exec_lo, vcc_lo
.LBB0_490:                              ;   in Loop: Header=BB0_7 Depth=1
	s_delay_alu instid0(VALU_DEP_1)
	v_readlane_b32 vcc_lo, v18, 0
	s_or_b32 exec_lo, exec_lo, vcc_lo
.LBB0_491:                              ;   in Loop: Header=BB0_7 Depth=1
	s_delay_alu instid0(SALU_CYCLE_1)
	s_or_b32 exec_lo, exec_lo, s104
.LBB0_492:                              ;   in Loop: Header=BB0_7 Depth=1
	s_delay_alu instid0(SALU_CYCLE_1)
	s_or_b32 exec_lo, exec_lo, s101
.LBB0_493:                              ;   in Loop: Header=BB0_7 Depth=1
	s_delay_alu instid0(SALU_CYCLE_1)
	s_or_b32 exec_lo, exec_lo, s100
.LBB0_494:                              ;   in Loop: Header=BB0_7 Depth=1
	s_delay_alu instid0(SALU_CYCLE_1)
	s_or_b32 exec_lo, exec_lo, s99
.LBB0_495:                              ;   in Loop: Header=BB0_7 Depth=1
	s_delay_alu instid0(SALU_CYCLE_1)
	s_or_b32 exec_lo, exec_lo, s98
.LBB0_496:                              ;   in Loop: Header=BB0_7 Depth=1
	s_delay_alu instid0(SALU_CYCLE_1)
	s_or_b32 exec_lo, exec_lo, s97
.LBB0_497:                              ;   in Loop: Header=BB0_7 Depth=1
	s_delay_alu instid0(SALU_CYCLE_1)
	s_or_b32 exec_lo, exec_lo, s96
.LBB0_498:                              ;   in Loop: Header=BB0_7 Depth=1
	s_delay_alu instid0(SALU_CYCLE_1)
	s_or_b32 exec_lo, exec_lo, s95
.LBB0_499:                              ;   in Loop: Header=BB0_7 Depth=1
	s_delay_alu instid0(SALU_CYCLE_1)
	s_or_b32 exec_lo, exec_lo, s94
.LBB0_500:                              ;   in Loop: Header=BB0_7 Depth=1
	s_delay_alu instid0(SALU_CYCLE_1)
	s_or_b32 exec_lo, exec_lo, s93
.LBB0_501:                              ;   in Loop: Header=BB0_7 Depth=1
	s_delay_alu instid0(SALU_CYCLE_1)
	s_or_b32 exec_lo, exec_lo, s92
.LBB0_502:                              ;   in Loop: Header=BB0_7 Depth=1
	s_delay_alu instid0(SALU_CYCLE_1)
	s_or_b32 exec_lo, exec_lo, s91
.LBB0_503:                              ;   in Loop: Header=BB0_7 Depth=1
	s_delay_alu instid0(SALU_CYCLE_1)
	s_or_b32 exec_lo, exec_lo, s90
.LBB0_504:                              ;   in Loop: Header=BB0_7 Depth=1
	s_delay_alu instid0(SALU_CYCLE_1)
	s_or_b32 exec_lo, exec_lo, s89
.LBB0_505:                              ;   in Loop: Header=BB0_7 Depth=1
	s_delay_alu instid0(SALU_CYCLE_1)
	s_or_b32 exec_lo, exec_lo, s88
.LBB0_506:                              ;   in Loop: Header=BB0_7 Depth=1
	s_delay_alu instid0(SALU_CYCLE_1)
	s_or_b32 exec_lo, exec_lo, s87
.LBB0_507:                              ;   in Loop: Header=BB0_7 Depth=1
	s_delay_alu instid0(SALU_CYCLE_1)
	s_or_b32 exec_lo, exec_lo, s86
.LBB0_508:                              ;   in Loop: Header=BB0_7 Depth=1
	s_delay_alu instid0(SALU_CYCLE_1)
	s_or_b32 exec_lo, exec_lo, s85
.LBB0_509:                              ;   in Loop: Header=BB0_7 Depth=1
	s_delay_alu instid0(SALU_CYCLE_1)
	s_or_b32 exec_lo, exec_lo, s84
.LBB0_510:                              ;   in Loop: Header=BB0_7 Depth=1
	s_delay_alu instid0(SALU_CYCLE_1)
	s_or_b32 exec_lo, exec_lo, s83
.LBB0_511:                              ;   in Loop: Header=BB0_7 Depth=1
	s_delay_alu instid0(SALU_CYCLE_1)
	s_or_b32 exec_lo, exec_lo, s82
.LBB0_512:                              ;   in Loop: Header=BB0_7 Depth=1
	s_delay_alu instid0(SALU_CYCLE_1)
	s_or_b32 exec_lo, exec_lo, s81
.LBB0_513:                              ;   in Loop: Header=BB0_7 Depth=1
	s_delay_alu instid0(SALU_CYCLE_1) | instskip(SKIP_1) | instid1(SALU_CYCLE_1)
	s_or_b32 exec_lo, exec_lo, s80
	s_or_b32 s80, s33, 5
	v_cmp_ge_u32_e32 vcc_lo, s80, v0
	s_and_saveexec_b32 s80, vcc_lo
	s_delay_alu instid0(SALU_CYCLE_1)
	s_xor_b32 s80, exec_lo, s80
; %bb.514:                              ;   in Loop: Header=BB0_7 Depth=1
	v_or_b32_e32 v1, 0x7c00, v1
; %bb.515:                              ;   in Loop: Header=BB0_7 Depth=1
	s_and_not1_saveexec_b32 s80, s80
	s_cbranch_execz .LBB0_639
; %bb.516:                              ;   in Loop: Header=BB0_7 Depth=1
	s_add_co_i32 s81, s62, 0
	s_delay_alu instid0(SALU_CYCLE_1)
	v_mov_b32_e32 v8, s81
	s_mov_b32 s81, exec_lo
	ds_load_2addr_b64 v[12:15], v8 offset0:15 offset1:16
	ds_load_b64 v[16:17], v8 offset:136
	s_wait_dscnt 0x1
	v_mul_f64_e32 v[8:9], v[4:5], v[14:15]
	s_delay_alu instid0(VALU_DEP_1) | instskip(SKIP_1) | instid1(VALU_DEP_1)
	v_fmac_f64_e32 v[8:9], v[2:3], v[12:13]
	s_wait_dscnt 0x0
	v_fmac_f64_e32 v[8:9], v[6:7], v[16:17]
	s_delay_alu instid0(VALU_DEP_1)
	v_cmpx_ngt_f64_e32 s[60:61], v[8:9]
	s_xor_b32 s81, exec_lo, s81
	s_cbranch_execz .LBB0_636
; %bb.517:                              ;   in Loop: Header=BB0_7 Depth=1
	s_mov_b32 s82, exec_lo
	v_cmpx_ngt_f64_e32 s[66:67], v[8:9]
	s_xor_b32 s82, exec_lo, s82
	s_cbranch_execz .LBB0_633
; %bb.518:                              ;   in Loop: Header=BB0_7 Depth=1
	s_mov_b32 s83, exec_lo
	;; [unrolled: 5-line block ×21, first 2 shown]
	v_cmpx_ngt_f64_e32 s[18:19], v[8:9]
	s_xor_b32 s104, exec_lo, s104
	s_cbranch_execz .LBB0_573
; %bb.538:                              ;   in Loop: Header=BB0_7 Depth=1
	s_mov_b32 vcc_hi, exec_lo
	v_cmpx_ngt_f64_e32 s[16:17], v[8:9]
	s_xor_b32 vcc_hi, exec_lo, vcc_hi
	s_delay_alu instid0(SALU_CYCLE_1)
	v_writelane_b32 v18, vcc_hi, 0
	s_cbranch_execz .LBB0_570
; %bb.539:                              ;   in Loop: Header=BB0_7 Depth=1
	s_mov_b32 vcc_hi, exec_lo
	v_cmpx_ngt_f64_e32 s[50:51], v[8:9]
	s_xor_b32 vcc_hi, exec_lo, vcc_hi
	s_delay_alu instid0(SALU_CYCLE_1)
	v_writelane_b32 v18, vcc_hi, 1
	s_cbranch_execz .LBB0_567
; %bb.540:                              ;   in Loop: Header=BB0_7 Depth=1
	s_mov_b32 vcc_hi, exec_lo
	v_cmpx_ngt_f64_e32 s[48:49], v[8:9]
	s_xor_b32 vcc_hi, exec_lo, vcc_hi
	s_delay_alu instid0(SALU_CYCLE_1)
	v_writelane_b32 v18, vcc_hi, 2
	s_cbranch_execz .LBB0_564
; %bb.541:                              ;   in Loop: Header=BB0_7 Depth=1
	s_mov_b32 vcc_hi, exec_lo
	v_cmpx_ngt_f64_e32 s[46:47], v[8:9]
	s_xor_b32 vcc_hi, exec_lo, vcc_hi
	s_delay_alu instid0(SALU_CYCLE_1)
	v_writelane_b32 v18, vcc_hi, 3
	s_cbranch_execz .LBB0_561
; %bb.542:                              ;   in Loop: Header=BB0_7 Depth=1
	s_mov_b32 vcc_hi, exec_lo
	v_cmpx_ngt_f64_e32 s[44:45], v[8:9]
	s_xor_b32 vcc_hi, exec_lo, vcc_hi
	s_delay_alu instid0(SALU_CYCLE_1)
	v_writelane_b32 v18, vcc_hi, 4
	s_cbranch_execz .LBB0_558
; %bb.543:                              ;   in Loop: Header=BB0_7 Depth=1
	s_mov_b32 vcc_hi, exec_lo
	v_cmpx_ngt_f64_e32 s[42:43], v[8:9]
	s_xor_b32 vcc_hi, exec_lo, vcc_hi
	s_delay_alu instid0(SALU_CYCLE_1)
	v_writelane_b32 v18, vcc_hi, 5
	s_cbranch_execz .LBB0_555
; %bb.544:                              ;   in Loop: Header=BB0_7 Depth=1
	s_mov_b32 vcc_hi, exec_lo
	v_cmpx_ngt_f64_e32 s[40:41], v[8:9]
	s_xor_b32 vcc_hi, exec_lo, vcc_hi
	s_delay_alu instid0(SALU_CYCLE_1)
	v_writelane_b32 v18, vcc_hi, 6
	s_cbranch_execz .LBB0_552
; %bb.545:                              ;   in Loop: Header=BB0_7 Depth=1
	s_mov_b32 vcc_hi, exec_lo
	v_cmpx_ngt_f64_e32 s[38:39], v[8:9]
	s_xor_b32 vcc_hi, exec_lo, vcc_hi
	s_delay_alu instid0(SALU_CYCLE_1)
	v_writelane_b32 v18, vcc_hi, 8
	s_cbranch_execz .LBB0_549
; %bb.546:                              ;   in Loop: Header=BB0_7 Depth=1
	s_mov_b32 vcc_lo, exec_lo
	v_cmpx_gt_f64_e32 s[36:37], v[8:9]
; %bb.547:                              ;   in Loop: Header=BB0_7 Depth=1
	v_or_b32_e32 v1, 0x400, v1
; %bb.548:                              ;   in Loop: Header=BB0_7 Depth=1
	s_or_b32 exec_lo, exec_lo, vcc_lo
.LBB0_549:                              ;   in Loop: Header=BB0_7 Depth=1
	s_delay_alu instid0(VALU_DEP_1)
	v_readlane_b32 vcc_lo, v18, 8
	s_and_not1_saveexec_b32 vcc_lo, vcc_lo
; %bb.550:                              ;   in Loop: Header=BB0_7 Depth=1
	v_or_b32_e32 v1, 0x800, v1
; %bb.551:                              ;   in Loop: Header=BB0_7 Depth=1
	s_or_b32 exec_lo, exec_lo, vcc_lo
.LBB0_552:                              ;   in Loop: Header=BB0_7 Depth=1
	s_delay_alu instid0(VALU_DEP_1)
	v_readlane_b32 vcc_lo, v18, 6
	s_and_not1_saveexec_b32 vcc_lo, vcc_lo
; %bb.553:                              ;   in Loop: Header=BB0_7 Depth=1
	v_or_b32_e32 v1, 0xc00, v1
; %bb.554:                              ;   in Loop: Header=BB0_7 Depth=1
	s_or_b32 exec_lo, exec_lo, vcc_lo
.LBB0_555:                              ;   in Loop: Header=BB0_7 Depth=1
	s_delay_alu instid0(VALU_DEP_1)
	v_readlane_b32 vcc_lo, v18, 5
	s_and_not1_saveexec_b32 vcc_lo, vcc_lo
; %bb.556:                              ;   in Loop: Header=BB0_7 Depth=1
	v_or_b32_e32 v1, 0x1000, v1
; %bb.557:                              ;   in Loop: Header=BB0_7 Depth=1
	s_or_b32 exec_lo, exec_lo, vcc_lo
.LBB0_558:                              ;   in Loop: Header=BB0_7 Depth=1
	s_delay_alu instid0(VALU_DEP_1)
	v_readlane_b32 vcc_lo, v18, 4
	s_and_not1_saveexec_b32 vcc_lo, vcc_lo
; %bb.559:                              ;   in Loop: Header=BB0_7 Depth=1
	v_or_b32_e32 v1, 0x1400, v1
; %bb.560:                              ;   in Loop: Header=BB0_7 Depth=1
	s_or_b32 exec_lo, exec_lo, vcc_lo
.LBB0_561:                              ;   in Loop: Header=BB0_7 Depth=1
	s_delay_alu instid0(VALU_DEP_1)
	v_readlane_b32 vcc_lo, v18, 3
	s_and_not1_saveexec_b32 vcc_lo, vcc_lo
; %bb.562:                              ;   in Loop: Header=BB0_7 Depth=1
	v_or_b32_e32 v1, 0x1800, v1
; %bb.563:                              ;   in Loop: Header=BB0_7 Depth=1
	s_or_b32 exec_lo, exec_lo, vcc_lo
.LBB0_564:                              ;   in Loop: Header=BB0_7 Depth=1
	s_delay_alu instid0(VALU_DEP_1)
	v_readlane_b32 vcc_lo, v18, 2
	s_and_not1_saveexec_b32 vcc_lo, vcc_lo
; %bb.565:                              ;   in Loop: Header=BB0_7 Depth=1
	v_or_b32_e32 v1, 0x1c00, v1
; %bb.566:                              ;   in Loop: Header=BB0_7 Depth=1
	s_or_b32 exec_lo, exec_lo, vcc_lo
.LBB0_567:                              ;   in Loop: Header=BB0_7 Depth=1
	s_delay_alu instid0(VALU_DEP_1)
	v_readlane_b32 vcc_lo, v18, 1
	s_and_not1_saveexec_b32 vcc_lo, vcc_lo
; %bb.568:                              ;   in Loop: Header=BB0_7 Depth=1
	v_or_b32_e32 v1, 0x2000, v1
; %bb.569:                              ;   in Loop: Header=BB0_7 Depth=1
	s_or_b32 exec_lo, exec_lo, vcc_lo
.LBB0_570:                              ;   in Loop: Header=BB0_7 Depth=1
	s_delay_alu instid0(VALU_DEP_1)
	v_readlane_b32 vcc_lo, v18, 0
	s_and_not1_saveexec_b32 vcc_lo, vcc_lo
; %bb.571:                              ;   in Loop: Header=BB0_7 Depth=1
	v_or_b32_e32 v1, 0x2400, v1
; %bb.572:                              ;   in Loop: Header=BB0_7 Depth=1
	s_or_b32 exec_lo, exec_lo, vcc_lo
.LBB0_573:                              ;   in Loop: Header=BB0_7 Depth=1
	s_and_not1_saveexec_b32 s104, s104
; %bb.574:                              ;   in Loop: Header=BB0_7 Depth=1
	s_delay_alu instid0(VALU_DEP_1)
	v_or_b32_e32 v1, 0x2800, v1
; %bb.575:                              ;   in Loop: Header=BB0_7 Depth=1
	s_or_b32 exec_lo, exec_lo, s104
.LBB0_576:                              ;   in Loop: Header=BB0_7 Depth=1
	s_and_not1_saveexec_b32 s101, s101
; %bb.577:                              ;   in Loop: Header=BB0_7 Depth=1
	s_delay_alu instid0(VALU_DEP_1)
	v_or_b32_e32 v1, 0x2c00, v1
; %bb.578:                              ;   in Loop: Header=BB0_7 Depth=1
	s_or_b32 exec_lo, exec_lo, s101
.LBB0_579:                              ;   in Loop: Header=BB0_7 Depth=1
	s_and_not1_saveexec_b32 s100, s100
; %bb.580:                              ;   in Loop: Header=BB0_7 Depth=1
	s_delay_alu instid0(VALU_DEP_1)
	v_or_b32_e32 v1, 0x3000, v1
; %bb.581:                              ;   in Loop: Header=BB0_7 Depth=1
	s_or_b32 exec_lo, exec_lo, s100
.LBB0_582:                              ;   in Loop: Header=BB0_7 Depth=1
	s_and_not1_saveexec_b32 s99, s99
; %bb.583:                              ;   in Loop: Header=BB0_7 Depth=1
	s_delay_alu instid0(VALU_DEP_1)
	v_or_b32_e32 v1, 0x3400, v1
; %bb.584:                              ;   in Loop: Header=BB0_7 Depth=1
	s_or_b32 exec_lo, exec_lo, s99
.LBB0_585:                              ;   in Loop: Header=BB0_7 Depth=1
	s_and_not1_saveexec_b32 s98, s98
; %bb.586:                              ;   in Loop: Header=BB0_7 Depth=1
	s_delay_alu instid0(VALU_DEP_1)
	v_or_b32_e32 v1, 0x3800, v1
; %bb.587:                              ;   in Loop: Header=BB0_7 Depth=1
	s_or_b32 exec_lo, exec_lo, s98
.LBB0_588:                              ;   in Loop: Header=BB0_7 Depth=1
	s_and_not1_saveexec_b32 s97, s97
; %bb.589:                              ;   in Loop: Header=BB0_7 Depth=1
	s_delay_alu instid0(VALU_DEP_1)
	v_or_b32_e32 v1, 0x3c00, v1
; %bb.590:                              ;   in Loop: Header=BB0_7 Depth=1
	s_or_b32 exec_lo, exec_lo, s97
.LBB0_591:                              ;   in Loop: Header=BB0_7 Depth=1
	s_and_not1_saveexec_b32 s96, s96
; %bb.592:                              ;   in Loop: Header=BB0_7 Depth=1
	s_delay_alu instid0(VALU_DEP_1)
	v_or_b32_e32 v1, 0x4000, v1
; %bb.593:                              ;   in Loop: Header=BB0_7 Depth=1
	s_or_b32 exec_lo, exec_lo, s96
.LBB0_594:                              ;   in Loop: Header=BB0_7 Depth=1
	s_and_not1_saveexec_b32 s95, s95
; %bb.595:                              ;   in Loop: Header=BB0_7 Depth=1
	s_delay_alu instid0(VALU_DEP_1)
	v_or_b32_e32 v1, 0x4400, v1
; %bb.596:                              ;   in Loop: Header=BB0_7 Depth=1
	s_or_b32 exec_lo, exec_lo, s95
.LBB0_597:                              ;   in Loop: Header=BB0_7 Depth=1
	s_and_not1_saveexec_b32 s94, s94
; %bb.598:                              ;   in Loop: Header=BB0_7 Depth=1
	s_delay_alu instid0(VALU_DEP_1)
	v_or_b32_e32 v1, 0x4800, v1
; %bb.599:                              ;   in Loop: Header=BB0_7 Depth=1
	s_or_b32 exec_lo, exec_lo, s94
.LBB0_600:                              ;   in Loop: Header=BB0_7 Depth=1
	s_and_not1_saveexec_b32 s93, s93
; %bb.601:                              ;   in Loop: Header=BB0_7 Depth=1
	s_delay_alu instid0(VALU_DEP_1)
	v_or_b32_e32 v1, 0x4c00, v1
; %bb.602:                              ;   in Loop: Header=BB0_7 Depth=1
	s_or_b32 exec_lo, exec_lo, s93
.LBB0_603:                              ;   in Loop: Header=BB0_7 Depth=1
	s_and_not1_saveexec_b32 s92, s92
; %bb.604:                              ;   in Loop: Header=BB0_7 Depth=1
	s_delay_alu instid0(VALU_DEP_1)
	v_or_b32_e32 v1, 0x5000, v1
; %bb.605:                              ;   in Loop: Header=BB0_7 Depth=1
	s_or_b32 exec_lo, exec_lo, s92
.LBB0_606:                              ;   in Loop: Header=BB0_7 Depth=1
	s_and_not1_saveexec_b32 s91, s91
; %bb.607:                              ;   in Loop: Header=BB0_7 Depth=1
	s_delay_alu instid0(VALU_DEP_1)
	v_or_b32_e32 v1, 0x5400, v1
; %bb.608:                              ;   in Loop: Header=BB0_7 Depth=1
	s_or_b32 exec_lo, exec_lo, s91
.LBB0_609:                              ;   in Loop: Header=BB0_7 Depth=1
	s_and_not1_saveexec_b32 s90, s90
; %bb.610:                              ;   in Loop: Header=BB0_7 Depth=1
	s_delay_alu instid0(VALU_DEP_1)
	v_or_b32_e32 v1, 0x5800, v1
; %bb.611:                              ;   in Loop: Header=BB0_7 Depth=1
	s_or_b32 exec_lo, exec_lo, s90
.LBB0_612:                              ;   in Loop: Header=BB0_7 Depth=1
	s_and_not1_saveexec_b32 s89, s89
; %bb.613:                              ;   in Loop: Header=BB0_7 Depth=1
	s_delay_alu instid0(VALU_DEP_1)
	v_or_b32_e32 v1, 0x5c00, v1
; %bb.614:                              ;   in Loop: Header=BB0_7 Depth=1
	s_or_b32 exec_lo, exec_lo, s89
.LBB0_615:                              ;   in Loop: Header=BB0_7 Depth=1
	s_and_not1_saveexec_b32 s88, s88
; %bb.616:                              ;   in Loop: Header=BB0_7 Depth=1
	s_delay_alu instid0(VALU_DEP_1)
	v_or_b32_e32 v1, 0x6000, v1
; %bb.617:                              ;   in Loop: Header=BB0_7 Depth=1
	s_or_b32 exec_lo, exec_lo, s88
.LBB0_618:                              ;   in Loop: Header=BB0_7 Depth=1
	s_and_not1_saveexec_b32 s87, s87
; %bb.619:                              ;   in Loop: Header=BB0_7 Depth=1
	s_delay_alu instid0(VALU_DEP_1)
	v_or_b32_e32 v1, 0x6400, v1
; %bb.620:                              ;   in Loop: Header=BB0_7 Depth=1
	s_or_b32 exec_lo, exec_lo, s87
.LBB0_621:                              ;   in Loop: Header=BB0_7 Depth=1
	s_and_not1_saveexec_b32 s86, s86
; %bb.622:                              ;   in Loop: Header=BB0_7 Depth=1
	s_delay_alu instid0(VALU_DEP_1)
	v_or_b32_e32 v1, 0x6800, v1
; %bb.623:                              ;   in Loop: Header=BB0_7 Depth=1
	s_or_b32 exec_lo, exec_lo, s86
.LBB0_624:                              ;   in Loop: Header=BB0_7 Depth=1
	s_and_not1_saveexec_b32 s85, s85
; %bb.625:                              ;   in Loop: Header=BB0_7 Depth=1
	s_delay_alu instid0(VALU_DEP_1)
	v_or_b32_e32 v1, 0x6c00, v1
; %bb.626:                              ;   in Loop: Header=BB0_7 Depth=1
	s_or_b32 exec_lo, exec_lo, s85
.LBB0_627:                              ;   in Loop: Header=BB0_7 Depth=1
	s_and_not1_saveexec_b32 s84, s84
; %bb.628:                              ;   in Loop: Header=BB0_7 Depth=1
	s_delay_alu instid0(VALU_DEP_1)
	v_or_b32_e32 v1, 0x7000, v1
; %bb.629:                              ;   in Loop: Header=BB0_7 Depth=1
	s_or_b32 exec_lo, exec_lo, s84
.LBB0_630:                              ;   in Loop: Header=BB0_7 Depth=1
	s_and_not1_saveexec_b32 s83, s83
; %bb.631:                              ;   in Loop: Header=BB0_7 Depth=1
	s_delay_alu instid0(VALU_DEP_1)
	v_or_b32_e32 v1, 0x7400, v1
; %bb.632:                              ;   in Loop: Header=BB0_7 Depth=1
	s_or_b32 exec_lo, exec_lo, s83
.LBB0_633:                              ;   in Loop: Header=BB0_7 Depth=1
	s_and_not1_saveexec_b32 s82, s82
; %bb.634:                              ;   in Loop: Header=BB0_7 Depth=1
	s_delay_alu instid0(VALU_DEP_1)
	v_or_b32_e32 v1, 0x7800, v1
; %bb.635:                              ;   in Loop: Header=BB0_7 Depth=1
	s_or_b32 exec_lo, exec_lo, s82
.LBB0_636:                              ;   in Loop: Header=BB0_7 Depth=1
	s_and_not1_saveexec_b32 s81, s81
; %bb.637:                              ;   in Loop: Header=BB0_7 Depth=1
	s_delay_alu instid0(VALU_DEP_1)
	v_or_b32_e32 v1, 0x7c00, v1
; %bb.638:                              ;   in Loop: Header=BB0_7 Depth=1
	s_or_b32 exec_lo, exec_lo, s81
.LBB0_639:                              ;   in Loop: Header=BB0_7 Depth=1
	s_delay_alu instid0(SALU_CYCLE_1) | instskip(SKIP_1) | instid1(SALU_CYCLE_1)
	s_or_b32 exec_lo, exec_lo, s80
	s_or_b32 s80, s33, 6
	v_cmp_ge_u32_e32 vcc_lo, s80, v0
	s_and_saveexec_b32 s80, vcc_lo
	s_delay_alu instid0(SALU_CYCLE_1)
	s_xor_b32 s80, exec_lo, s80
; %bb.640:                              ;   in Loop: Header=BB0_7 Depth=1
	v_add_nc_u32_e32 v1, 0x7c0000, v1
; %bb.641:                              ;   in Loop: Header=BB0_7 Depth=1
	s_and_not1_saveexec_b32 s80, s80
	s_cbranch_execz .LBB0_765
; %bb.642:                              ;   in Loop: Header=BB0_7 Depth=1
	s_add_co_i32 s81, s62, 0
	s_delay_alu instid0(SALU_CYCLE_1)
	v_mov_b32_e32 v8, s81
	s_mov_b32 s81, exec_lo
	ds_load_2addr_b64 v[12:15], v8 offset0:18 offset1:19
	ds_load_b64 v[16:17], v8 offset:160
	s_wait_dscnt 0x1
	v_mul_f64_e32 v[8:9], v[4:5], v[14:15]
	s_delay_alu instid0(VALU_DEP_1) | instskip(SKIP_1) | instid1(VALU_DEP_1)
	v_fmac_f64_e32 v[8:9], v[2:3], v[12:13]
	s_wait_dscnt 0x0
	v_fmac_f64_e32 v[8:9], v[6:7], v[16:17]
	s_delay_alu instid0(VALU_DEP_1)
	v_cmpx_ngt_f64_e32 s[60:61], v[8:9]
	s_xor_b32 s81, exec_lo, s81
	s_cbranch_execz .LBB0_762
; %bb.643:                              ;   in Loop: Header=BB0_7 Depth=1
	s_mov_b32 s82, exec_lo
	v_cmpx_ngt_f64_e32 s[66:67], v[8:9]
	s_xor_b32 s82, exec_lo, s82
	s_cbranch_execz .LBB0_759
; %bb.644:                              ;   in Loop: Header=BB0_7 Depth=1
	s_mov_b32 s83, exec_lo
	;; [unrolled: 5-line block ×21, first 2 shown]
	v_cmpx_ngt_f64_e32 s[18:19], v[8:9]
	s_xor_b32 s104, exec_lo, s104
	s_cbranch_execz .LBB0_699
; %bb.664:                              ;   in Loop: Header=BB0_7 Depth=1
	s_mov_b32 vcc_hi, exec_lo
	v_cmpx_ngt_f64_e32 s[16:17], v[8:9]
	s_xor_b32 vcc_hi, exec_lo, vcc_hi
	s_delay_alu instid0(SALU_CYCLE_1)
	v_writelane_b32 v18, vcc_hi, 0
	s_cbranch_execz .LBB0_696
; %bb.665:                              ;   in Loop: Header=BB0_7 Depth=1
	s_mov_b32 vcc_hi, exec_lo
	v_cmpx_ngt_f64_e32 s[50:51], v[8:9]
	s_xor_b32 vcc_hi, exec_lo, vcc_hi
	s_delay_alu instid0(SALU_CYCLE_1)
	v_writelane_b32 v18, vcc_hi, 1
	;; [unrolled: 7-line block ×8, first 2 shown]
	s_cbranch_execz .LBB0_675
; %bb.672:                              ;   in Loop: Header=BB0_7 Depth=1
	s_mov_b32 vcc_lo, exec_lo
	v_cmpx_gt_f64_e32 s[36:37], v[8:9]
; %bb.673:                              ;   in Loop: Header=BB0_7 Depth=1
	v_add_nc_u32_e32 v1, 0x40000, v1
; %bb.674:                              ;   in Loop: Header=BB0_7 Depth=1
	s_or_b32 exec_lo, exec_lo, vcc_lo
.LBB0_675:                              ;   in Loop: Header=BB0_7 Depth=1
	s_delay_alu instid0(VALU_DEP_1)
	v_readlane_b32 vcc_lo, v18, 8
	s_and_not1_saveexec_b32 vcc_lo, vcc_lo
; %bb.676:                              ;   in Loop: Header=BB0_7 Depth=1
	v_add_nc_u32_e32 v1, 0x80000, v1
; %bb.677:                              ;   in Loop: Header=BB0_7 Depth=1
	s_or_b32 exec_lo, exec_lo, vcc_lo
.LBB0_678:                              ;   in Loop: Header=BB0_7 Depth=1
	s_delay_alu instid0(VALU_DEP_1)
	v_readlane_b32 vcc_lo, v18, 6
	s_and_not1_saveexec_b32 vcc_lo, vcc_lo
; %bb.679:                              ;   in Loop: Header=BB0_7 Depth=1
	v_add_nc_u32_e32 v1, 0xc0000, v1
; %bb.680:                              ;   in Loop: Header=BB0_7 Depth=1
	s_or_b32 exec_lo, exec_lo, vcc_lo
.LBB0_681:                              ;   in Loop: Header=BB0_7 Depth=1
	s_delay_alu instid0(VALU_DEP_1)
	v_readlane_b32 vcc_lo, v18, 5
	s_and_not1_saveexec_b32 vcc_lo, vcc_lo
; %bb.682:                              ;   in Loop: Header=BB0_7 Depth=1
	v_add_nc_u32_e32 v1, 0x100000, v1
; %bb.683:                              ;   in Loop: Header=BB0_7 Depth=1
	s_or_b32 exec_lo, exec_lo, vcc_lo
.LBB0_684:                              ;   in Loop: Header=BB0_7 Depth=1
	s_delay_alu instid0(VALU_DEP_1)
	v_readlane_b32 vcc_lo, v18, 4
	s_and_not1_saveexec_b32 vcc_lo, vcc_lo
; %bb.685:                              ;   in Loop: Header=BB0_7 Depth=1
	v_add_nc_u32_e32 v1, 0x140000, v1
; %bb.686:                              ;   in Loop: Header=BB0_7 Depth=1
	s_or_b32 exec_lo, exec_lo, vcc_lo
.LBB0_687:                              ;   in Loop: Header=BB0_7 Depth=1
	s_delay_alu instid0(VALU_DEP_1)
	v_readlane_b32 vcc_lo, v18, 3
	s_and_not1_saveexec_b32 vcc_lo, vcc_lo
; %bb.688:                              ;   in Loop: Header=BB0_7 Depth=1
	v_add_nc_u32_e32 v1, 0x180000, v1
; %bb.689:                              ;   in Loop: Header=BB0_7 Depth=1
	s_or_b32 exec_lo, exec_lo, vcc_lo
.LBB0_690:                              ;   in Loop: Header=BB0_7 Depth=1
	s_delay_alu instid0(VALU_DEP_1)
	v_readlane_b32 vcc_lo, v18, 2
	s_and_not1_saveexec_b32 vcc_lo, vcc_lo
; %bb.691:                              ;   in Loop: Header=BB0_7 Depth=1
	v_add_nc_u32_e32 v1, 0x1c0000, v1
; %bb.692:                              ;   in Loop: Header=BB0_7 Depth=1
	s_or_b32 exec_lo, exec_lo, vcc_lo
.LBB0_693:                              ;   in Loop: Header=BB0_7 Depth=1
	s_delay_alu instid0(VALU_DEP_1)
	v_readlane_b32 vcc_lo, v18, 1
	s_and_not1_saveexec_b32 vcc_lo, vcc_lo
; %bb.694:                              ;   in Loop: Header=BB0_7 Depth=1
	v_add_nc_u32_e32 v1, 0x200000, v1
; %bb.695:                              ;   in Loop: Header=BB0_7 Depth=1
	s_or_b32 exec_lo, exec_lo, vcc_lo
.LBB0_696:                              ;   in Loop: Header=BB0_7 Depth=1
	s_delay_alu instid0(VALU_DEP_1)
	v_readlane_b32 vcc_lo, v18, 0
	s_and_not1_saveexec_b32 vcc_lo, vcc_lo
; %bb.697:                              ;   in Loop: Header=BB0_7 Depth=1
	v_add_nc_u32_e32 v1, 0x240000, v1
; %bb.698:                              ;   in Loop: Header=BB0_7 Depth=1
	s_or_b32 exec_lo, exec_lo, vcc_lo
.LBB0_699:                              ;   in Loop: Header=BB0_7 Depth=1
	s_and_not1_saveexec_b32 s104, s104
; %bb.700:                              ;   in Loop: Header=BB0_7 Depth=1
	s_delay_alu instid0(VALU_DEP_1)
	v_add_nc_u32_e32 v1, 0x280000, v1
; %bb.701:                              ;   in Loop: Header=BB0_7 Depth=1
	s_or_b32 exec_lo, exec_lo, s104
.LBB0_702:                              ;   in Loop: Header=BB0_7 Depth=1
	s_and_not1_saveexec_b32 s101, s101
; %bb.703:                              ;   in Loop: Header=BB0_7 Depth=1
	s_delay_alu instid0(VALU_DEP_1)
	v_add_nc_u32_e32 v1, 0x2c0000, v1
; %bb.704:                              ;   in Loop: Header=BB0_7 Depth=1
	s_or_b32 exec_lo, exec_lo, s101
.LBB0_705:                              ;   in Loop: Header=BB0_7 Depth=1
	s_and_not1_saveexec_b32 s100, s100
; %bb.706:                              ;   in Loop: Header=BB0_7 Depth=1
	s_delay_alu instid0(VALU_DEP_1)
	v_add_nc_u32_e32 v1, 0x300000, v1
; %bb.707:                              ;   in Loop: Header=BB0_7 Depth=1
	s_or_b32 exec_lo, exec_lo, s100
.LBB0_708:                              ;   in Loop: Header=BB0_7 Depth=1
	s_and_not1_saveexec_b32 s99, s99
; %bb.709:                              ;   in Loop: Header=BB0_7 Depth=1
	s_delay_alu instid0(VALU_DEP_1)
	v_add_nc_u32_e32 v1, 0x340000, v1
; %bb.710:                              ;   in Loop: Header=BB0_7 Depth=1
	s_or_b32 exec_lo, exec_lo, s99
.LBB0_711:                              ;   in Loop: Header=BB0_7 Depth=1
	s_and_not1_saveexec_b32 s98, s98
; %bb.712:                              ;   in Loop: Header=BB0_7 Depth=1
	s_delay_alu instid0(VALU_DEP_1)
	v_add_nc_u32_e32 v1, 0x380000, v1
; %bb.713:                              ;   in Loop: Header=BB0_7 Depth=1
	s_or_b32 exec_lo, exec_lo, s98
.LBB0_714:                              ;   in Loop: Header=BB0_7 Depth=1
	s_and_not1_saveexec_b32 s97, s97
; %bb.715:                              ;   in Loop: Header=BB0_7 Depth=1
	s_delay_alu instid0(VALU_DEP_1)
	v_add_nc_u32_e32 v1, 0x3c0000, v1
; %bb.716:                              ;   in Loop: Header=BB0_7 Depth=1
	s_or_b32 exec_lo, exec_lo, s97
.LBB0_717:                              ;   in Loop: Header=BB0_7 Depth=1
	s_and_not1_saveexec_b32 s96, s96
; %bb.718:                              ;   in Loop: Header=BB0_7 Depth=1
	s_delay_alu instid0(VALU_DEP_1)
	v_add_nc_u32_e32 v1, 0x400000, v1
; %bb.719:                              ;   in Loop: Header=BB0_7 Depth=1
	s_or_b32 exec_lo, exec_lo, s96
.LBB0_720:                              ;   in Loop: Header=BB0_7 Depth=1
	s_and_not1_saveexec_b32 s95, s95
; %bb.721:                              ;   in Loop: Header=BB0_7 Depth=1
	s_delay_alu instid0(VALU_DEP_1)
	v_add_nc_u32_e32 v1, 0x440000, v1
; %bb.722:                              ;   in Loop: Header=BB0_7 Depth=1
	s_or_b32 exec_lo, exec_lo, s95
.LBB0_723:                              ;   in Loop: Header=BB0_7 Depth=1
	s_and_not1_saveexec_b32 s94, s94
; %bb.724:                              ;   in Loop: Header=BB0_7 Depth=1
	s_delay_alu instid0(VALU_DEP_1)
	v_add_nc_u32_e32 v1, 0x480000, v1
; %bb.725:                              ;   in Loop: Header=BB0_7 Depth=1
	s_or_b32 exec_lo, exec_lo, s94
.LBB0_726:                              ;   in Loop: Header=BB0_7 Depth=1
	s_and_not1_saveexec_b32 s93, s93
; %bb.727:                              ;   in Loop: Header=BB0_7 Depth=1
	s_delay_alu instid0(VALU_DEP_1)
	v_add_nc_u32_e32 v1, 0x4c0000, v1
; %bb.728:                              ;   in Loop: Header=BB0_7 Depth=1
	s_or_b32 exec_lo, exec_lo, s93
.LBB0_729:                              ;   in Loop: Header=BB0_7 Depth=1
	s_and_not1_saveexec_b32 s92, s92
; %bb.730:                              ;   in Loop: Header=BB0_7 Depth=1
	s_delay_alu instid0(VALU_DEP_1)
	v_add_nc_u32_e32 v1, 0x500000, v1
; %bb.731:                              ;   in Loop: Header=BB0_7 Depth=1
	s_or_b32 exec_lo, exec_lo, s92
.LBB0_732:                              ;   in Loop: Header=BB0_7 Depth=1
	s_and_not1_saveexec_b32 s91, s91
; %bb.733:                              ;   in Loop: Header=BB0_7 Depth=1
	s_delay_alu instid0(VALU_DEP_1)
	v_add_nc_u32_e32 v1, 0x540000, v1
; %bb.734:                              ;   in Loop: Header=BB0_7 Depth=1
	s_or_b32 exec_lo, exec_lo, s91
.LBB0_735:                              ;   in Loop: Header=BB0_7 Depth=1
	s_and_not1_saveexec_b32 s90, s90
; %bb.736:                              ;   in Loop: Header=BB0_7 Depth=1
	s_delay_alu instid0(VALU_DEP_1)
	v_add_nc_u32_e32 v1, 0x580000, v1
; %bb.737:                              ;   in Loop: Header=BB0_7 Depth=1
	s_or_b32 exec_lo, exec_lo, s90
.LBB0_738:                              ;   in Loop: Header=BB0_7 Depth=1
	s_and_not1_saveexec_b32 s89, s89
; %bb.739:                              ;   in Loop: Header=BB0_7 Depth=1
	s_delay_alu instid0(VALU_DEP_1)
	v_add_nc_u32_e32 v1, 0x5c0000, v1
; %bb.740:                              ;   in Loop: Header=BB0_7 Depth=1
	s_or_b32 exec_lo, exec_lo, s89
.LBB0_741:                              ;   in Loop: Header=BB0_7 Depth=1
	s_and_not1_saveexec_b32 s88, s88
; %bb.742:                              ;   in Loop: Header=BB0_7 Depth=1
	s_delay_alu instid0(VALU_DEP_1)
	v_add_nc_u32_e32 v1, 0x600000, v1
; %bb.743:                              ;   in Loop: Header=BB0_7 Depth=1
	s_or_b32 exec_lo, exec_lo, s88
.LBB0_744:                              ;   in Loop: Header=BB0_7 Depth=1
	s_and_not1_saveexec_b32 s87, s87
; %bb.745:                              ;   in Loop: Header=BB0_7 Depth=1
	s_delay_alu instid0(VALU_DEP_1)
	v_add_nc_u32_e32 v1, 0x640000, v1
; %bb.746:                              ;   in Loop: Header=BB0_7 Depth=1
	s_or_b32 exec_lo, exec_lo, s87
.LBB0_747:                              ;   in Loop: Header=BB0_7 Depth=1
	s_and_not1_saveexec_b32 s86, s86
; %bb.748:                              ;   in Loop: Header=BB0_7 Depth=1
	s_delay_alu instid0(VALU_DEP_1)
	v_add_nc_u32_e32 v1, 0x680000, v1
; %bb.749:                              ;   in Loop: Header=BB0_7 Depth=1
	s_or_b32 exec_lo, exec_lo, s86
.LBB0_750:                              ;   in Loop: Header=BB0_7 Depth=1
	s_and_not1_saveexec_b32 s85, s85
; %bb.751:                              ;   in Loop: Header=BB0_7 Depth=1
	s_delay_alu instid0(VALU_DEP_1)
	v_add_nc_u32_e32 v1, 0x6c0000, v1
; %bb.752:                              ;   in Loop: Header=BB0_7 Depth=1
	s_or_b32 exec_lo, exec_lo, s85
.LBB0_753:                              ;   in Loop: Header=BB0_7 Depth=1
	s_and_not1_saveexec_b32 s84, s84
; %bb.754:                              ;   in Loop: Header=BB0_7 Depth=1
	s_delay_alu instid0(VALU_DEP_1)
	v_add_nc_u32_e32 v1, 0x700000, v1
; %bb.755:                              ;   in Loop: Header=BB0_7 Depth=1
	s_or_b32 exec_lo, exec_lo, s84
.LBB0_756:                              ;   in Loop: Header=BB0_7 Depth=1
	s_and_not1_saveexec_b32 s83, s83
; %bb.757:                              ;   in Loop: Header=BB0_7 Depth=1
	s_delay_alu instid0(VALU_DEP_1)
	v_add_nc_u32_e32 v1, 0x740000, v1
; %bb.758:                              ;   in Loop: Header=BB0_7 Depth=1
	s_or_b32 exec_lo, exec_lo, s83
.LBB0_759:                              ;   in Loop: Header=BB0_7 Depth=1
	s_and_not1_saveexec_b32 s82, s82
; %bb.760:                              ;   in Loop: Header=BB0_7 Depth=1
	s_delay_alu instid0(VALU_DEP_1)
	v_add_nc_u32_e32 v1, 0x780000, v1
; %bb.761:                              ;   in Loop: Header=BB0_7 Depth=1
	s_or_b32 exec_lo, exec_lo, s82
.LBB0_762:                              ;   in Loop: Header=BB0_7 Depth=1
	s_and_not1_saveexec_b32 s81, s81
; %bb.763:                              ;   in Loop: Header=BB0_7 Depth=1
	s_delay_alu instid0(VALU_DEP_1)
	v_add_nc_u32_e32 v1, 0x7c0000, v1
; %bb.764:                              ;   in Loop: Header=BB0_7 Depth=1
	s_or_b32 exec_lo, exec_lo, s81
.LBB0_765:                              ;   in Loop: Header=BB0_7 Depth=1
	s_delay_alu instid0(SALU_CYCLE_1) | instskip(SKIP_1) | instid1(SALU_CYCLE_1)
	s_or_b32 exec_lo, exec_lo, s80
	s_or_b32 s80, s33, 7
	v_cmp_ge_u32_e32 vcc_lo, s80, v0
	s_and_saveexec_b32 s80, vcc_lo
	s_delay_alu instid0(SALU_CYCLE_1)
	s_xor_b32 s80, exec_lo, s80
; %bb.766:                              ;   in Loop: Header=BB0_7 Depth=1
	v_add_nc_u32_e32 v1, 0x7c000000, v1
; %bb.767:                              ;   in Loop: Header=BB0_7 Depth=1
	s_and_not1_saveexec_b32 s80, s80
	s_cbranch_execz .LBB0_891
; %bb.768:                              ;   in Loop: Header=BB0_7 Depth=1
	s_add_co_i32 s81, s62, 0
	s_delay_alu instid0(SALU_CYCLE_1)
	v_mov_b32_e32 v8, s81
	s_mov_b32 s81, exec_lo
	ds_load_2addr_b64 v[12:15], v8 offset0:21 offset1:22
	ds_load_b64 v[16:17], v8 offset:184
	s_wait_dscnt 0x1
	v_mul_f64_e32 v[8:9], v[4:5], v[14:15]
	s_delay_alu instid0(VALU_DEP_1) | instskip(SKIP_1) | instid1(VALU_DEP_1)
	v_fmac_f64_e32 v[8:9], v[2:3], v[12:13]
	s_wait_dscnt 0x0
	v_fmac_f64_e32 v[8:9], v[6:7], v[16:17]
	s_delay_alu instid0(VALU_DEP_1)
	v_cmpx_ngt_f64_e32 s[60:61], v[8:9]
	s_xor_b32 s81, exec_lo, s81
	s_cbranch_execz .LBB0_888
; %bb.769:                              ;   in Loop: Header=BB0_7 Depth=1
	s_mov_b32 s82, exec_lo
	v_cmpx_ngt_f64_e32 s[66:67], v[8:9]
	s_xor_b32 s82, exec_lo, s82
	s_cbranch_execz .LBB0_885
; %bb.770:                              ;   in Loop: Header=BB0_7 Depth=1
	s_mov_b32 s83, exec_lo
	;; [unrolled: 5-line block ×21, first 2 shown]
	v_cmpx_ngt_f64_e32 s[18:19], v[8:9]
	s_xor_b32 s104, exec_lo, s104
	s_cbranch_execz .LBB0_825
; %bb.790:                              ;   in Loop: Header=BB0_7 Depth=1
	s_mov_b32 vcc_hi, exec_lo
	v_cmpx_ngt_f64_e32 s[16:17], v[8:9]
	s_xor_b32 vcc_hi, exec_lo, vcc_hi
	s_delay_alu instid0(SALU_CYCLE_1)
	v_writelane_b32 v18, vcc_hi, 0
	s_cbranch_execz .LBB0_822
; %bb.791:                              ;   in Loop: Header=BB0_7 Depth=1
	s_mov_b32 vcc_hi, exec_lo
	v_cmpx_ngt_f64_e32 s[50:51], v[8:9]
	s_xor_b32 vcc_hi, exec_lo, vcc_hi
	s_delay_alu instid0(SALU_CYCLE_1)
	v_writelane_b32 v18, vcc_hi, 1
	;; [unrolled: 7-line block ×8, first 2 shown]
	s_cbranch_execz .LBB0_801
; %bb.798:                              ;   in Loop: Header=BB0_7 Depth=1
	s_mov_b32 vcc_lo, exec_lo
	v_cmpx_gt_f64_e32 s[36:37], v[8:9]
; %bb.799:                              ;   in Loop: Header=BB0_7 Depth=1
	v_add_nc_u32_e32 v1, 0x4000000, v1
; %bb.800:                              ;   in Loop: Header=BB0_7 Depth=1
	s_or_b32 exec_lo, exec_lo, vcc_lo
.LBB0_801:                              ;   in Loop: Header=BB0_7 Depth=1
	s_delay_alu instid0(VALU_DEP_1)
	v_readlane_b32 vcc_lo, v18, 8
	s_and_not1_saveexec_b32 vcc_lo, vcc_lo
; %bb.802:                              ;   in Loop: Header=BB0_7 Depth=1
	v_add_nc_u32_e32 v1, 0x8000000, v1
; %bb.803:                              ;   in Loop: Header=BB0_7 Depth=1
	s_or_b32 exec_lo, exec_lo, vcc_lo
.LBB0_804:                              ;   in Loop: Header=BB0_7 Depth=1
	s_delay_alu instid0(VALU_DEP_1)
	v_readlane_b32 vcc_lo, v18, 6
	s_and_not1_saveexec_b32 vcc_lo, vcc_lo
; %bb.805:                              ;   in Loop: Header=BB0_7 Depth=1
	v_add_nc_u32_e32 v1, 0xc000000, v1
; %bb.806:                              ;   in Loop: Header=BB0_7 Depth=1
	s_or_b32 exec_lo, exec_lo, vcc_lo
.LBB0_807:                              ;   in Loop: Header=BB0_7 Depth=1
	s_delay_alu instid0(VALU_DEP_1)
	v_readlane_b32 vcc_lo, v18, 5
	s_and_not1_saveexec_b32 vcc_lo, vcc_lo
; %bb.808:                              ;   in Loop: Header=BB0_7 Depth=1
	v_add_nc_u32_e32 v1, 0x10000000, v1
; %bb.809:                              ;   in Loop: Header=BB0_7 Depth=1
	s_or_b32 exec_lo, exec_lo, vcc_lo
.LBB0_810:                              ;   in Loop: Header=BB0_7 Depth=1
	s_delay_alu instid0(VALU_DEP_1)
	v_readlane_b32 vcc_lo, v18, 4
	s_and_not1_saveexec_b32 vcc_lo, vcc_lo
; %bb.811:                              ;   in Loop: Header=BB0_7 Depth=1
	v_add_nc_u32_e32 v1, 0x14000000, v1
; %bb.812:                              ;   in Loop: Header=BB0_7 Depth=1
	s_or_b32 exec_lo, exec_lo, vcc_lo
.LBB0_813:                              ;   in Loop: Header=BB0_7 Depth=1
	s_delay_alu instid0(VALU_DEP_1)
	v_readlane_b32 vcc_lo, v18, 3
	s_and_not1_saveexec_b32 vcc_lo, vcc_lo
; %bb.814:                              ;   in Loop: Header=BB0_7 Depth=1
	v_add_nc_u32_e32 v1, 0x18000000, v1
; %bb.815:                              ;   in Loop: Header=BB0_7 Depth=1
	s_or_b32 exec_lo, exec_lo, vcc_lo
.LBB0_816:                              ;   in Loop: Header=BB0_7 Depth=1
	s_delay_alu instid0(VALU_DEP_1)
	v_readlane_b32 vcc_lo, v18, 2
	s_and_not1_saveexec_b32 vcc_lo, vcc_lo
; %bb.817:                              ;   in Loop: Header=BB0_7 Depth=1
	v_add_nc_u32_e32 v1, 0x1c000000, v1
; %bb.818:                              ;   in Loop: Header=BB0_7 Depth=1
	s_or_b32 exec_lo, exec_lo, vcc_lo
.LBB0_819:                              ;   in Loop: Header=BB0_7 Depth=1
	s_delay_alu instid0(VALU_DEP_1)
	v_readlane_b32 vcc_lo, v18, 1
	s_and_not1_saveexec_b32 vcc_lo, vcc_lo
; %bb.820:                              ;   in Loop: Header=BB0_7 Depth=1
	v_add_nc_u32_e32 v1, 0x20000000, v1
; %bb.821:                              ;   in Loop: Header=BB0_7 Depth=1
	s_or_b32 exec_lo, exec_lo, vcc_lo
.LBB0_822:                              ;   in Loop: Header=BB0_7 Depth=1
	s_delay_alu instid0(VALU_DEP_1)
	v_readlane_b32 vcc_lo, v18, 0
	s_and_not1_saveexec_b32 vcc_lo, vcc_lo
; %bb.823:                              ;   in Loop: Header=BB0_7 Depth=1
	v_add_nc_u32_e32 v1, 0x24000000, v1
; %bb.824:                              ;   in Loop: Header=BB0_7 Depth=1
	s_or_b32 exec_lo, exec_lo, vcc_lo
.LBB0_825:                              ;   in Loop: Header=BB0_7 Depth=1
	s_and_not1_saveexec_b32 s104, s104
; %bb.826:                              ;   in Loop: Header=BB0_7 Depth=1
	s_delay_alu instid0(VALU_DEP_1)
	v_add_nc_u32_e32 v1, 0x28000000, v1
; %bb.827:                              ;   in Loop: Header=BB0_7 Depth=1
	s_or_b32 exec_lo, exec_lo, s104
.LBB0_828:                              ;   in Loop: Header=BB0_7 Depth=1
	s_and_not1_saveexec_b32 s101, s101
; %bb.829:                              ;   in Loop: Header=BB0_7 Depth=1
	s_delay_alu instid0(VALU_DEP_1)
	v_add_nc_u32_e32 v1, 0x2c000000, v1
; %bb.830:                              ;   in Loop: Header=BB0_7 Depth=1
	s_or_b32 exec_lo, exec_lo, s101
.LBB0_831:                              ;   in Loop: Header=BB0_7 Depth=1
	s_and_not1_saveexec_b32 s100, s100
; %bb.832:                              ;   in Loop: Header=BB0_7 Depth=1
	s_delay_alu instid0(VALU_DEP_1)
	v_add_nc_u32_e32 v1, 0x30000000, v1
; %bb.833:                              ;   in Loop: Header=BB0_7 Depth=1
	s_or_b32 exec_lo, exec_lo, s100
.LBB0_834:                              ;   in Loop: Header=BB0_7 Depth=1
	s_and_not1_saveexec_b32 s99, s99
; %bb.835:                              ;   in Loop: Header=BB0_7 Depth=1
	s_delay_alu instid0(VALU_DEP_1)
	v_add_nc_u32_e32 v1, 0x34000000, v1
; %bb.836:                              ;   in Loop: Header=BB0_7 Depth=1
	s_or_b32 exec_lo, exec_lo, s99
.LBB0_837:                              ;   in Loop: Header=BB0_7 Depth=1
	s_and_not1_saveexec_b32 s98, s98
; %bb.838:                              ;   in Loop: Header=BB0_7 Depth=1
	s_delay_alu instid0(VALU_DEP_1)
	v_add_nc_u32_e32 v1, 0x38000000, v1
; %bb.839:                              ;   in Loop: Header=BB0_7 Depth=1
	s_or_b32 exec_lo, exec_lo, s98
.LBB0_840:                              ;   in Loop: Header=BB0_7 Depth=1
	s_and_not1_saveexec_b32 s97, s97
; %bb.841:                              ;   in Loop: Header=BB0_7 Depth=1
	s_delay_alu instid0(VALU_DEP_1)
	v_add_nc_u32_e32 v1, 0x3c000000, v1
; %bb.842:                              ;   in Loop: Header=BB0_7 Depth=1
	s_or_b32 exec_lo, exec_lo, s97
.LBB0_843:                              ;   in Loop: Header=BB0_7 Depth=1
	s_and_not1_saveexec_b32 s96, s96
; %bb.844:                              ;   in Loop: Header=BB0_7 Depth=1
	s_delay_alu instid0(VALU_DEP_1)
	v_add_nc_u32_e32 v1, 2.0, v1
; %bb.845:                              ;   in Loop: Header=BB0_7 Depth=1
	s_or_b32 exec_lo, exec_lo, s96
.LBB0_846:                              ;   in Loop: Header=BB0_7 Depth=1
	s_and_not1_saveexec_b32 s95, s95
; %bb.847:                              ;   in Loop: Header=BB0_7 Depth=1
	s_delay_alu instid0(VALU_DEP_1)
	v_add_nc_u32_e32 v1, 0x44000000, v1
; %bb.848:                              ;   in Loop: Header=BB0_7 Depth=1
	s_or_b32 exec_lo, exec_lo, s95
.LBB0_849:                              ;   in Loop: Header=BB0_7 Depth=1
	s_and_not1_saveexec_b32 s94, s94
; %bb.850:                              ;   in Loop: Header=BB0_7 Depth=1
	s_delay_alu instid0(VALU_DEP_1)
	v_add_nc_u32_e32 v1, 0x48000000, v1
; %bb.851:                              ;   in Loop: Header=BB0_7 Depth=1
	s_or_b32 exec_lo, exec_lo, s94
.LBB0_852:                              ;   in Loop: Header=BB0_7 Depth=1
	s_and_not1_saveexec_b32 s93, s93
; %bb.853:                              ;   in Loop: Header=BB0_7 Depth=1
	s_delay_alu instid0(VALU_DEP_1)
	v_add_nc_u32_e32 v1, 0x4c000000, v1
; %bb.854:                              ;   in Loop: Header=BB0_7 Depth=1
	s_or_b32 exec_lo, exec_lo, s93
.LBB0_855:                              ;   in Loop: Header=BB0_7 Depth=1
	s_and_not1_saveexec_b32 s92, s92
; %bb.856:                              ;   in Loop: Header=BB0_7 Depth=1
	s_delay_alu instid0(VALU_DEP_1)
	v_add_nc_u32_e32 v1, 0x50000000, v1
; %bb.857:                              ;   in Loop: Header=BB0_7 Depth=1
	s_or_b32 exec_lo, exec_lo, s92
.LBB0_858:                              ;   in Loop: Header=BB0_7 Depth=1
	s_and_not1_saveexec_b32 s91, s91
; %bb.859:                              ;   in Loop: Header=BB0_7 Depth=1
	s_delay_alu instid0(VALU_DEP_1)
	v_add_nc_u32_e32 v1, 0x54000000, v1
; %bb.860:                              ;   in Loop: Header=BB0_7 Depth=1
	s_or_b32 exec_lo, exec_lo, s91
.LBB0_861:                              ;   in Loop: Header=BB0_7 Depth=1
	s_and_not1_saveexec_b32 s90, s90
; %bb.862:                              ;   in Loop: Header=BB0_7 Depth=1
	s_delay_alu instid0(VALU_DEP_1)
	v_add_nc_u32_e32 v1, 0x58000000, v1
; %bb.863:                              ;   in Loop: Header=BB0_7 Depth=1
	s_or_b32 exec_lo, exec_lo, s90
.LBB0_864:                              ;   in Loop: Header=BB0_7 Depth=1
	s_and_not1_saveexec_b32 s89, s89
; %bb.865:                              ;   in Loop: Header=BB0_7 Depth=1
	s_delay_alu instid0(VALU_DEP_1)
	v_add_nc_u32_e32 v1, 0x5c000000, v1
; %bb.866:                              ;   in Loop: Header=BB0_7 Depth=1
	s_or_b32 exec_lo, exec_lo, s89
.LBB0_867:                              ;   in Loop: Header=BB0_7 Depth=1
	s_and_not1_saveexec_b32 s88, s88
; %bb.868:                              ;   in Loop: Header=BB0_7 Depth=1
	s_delay_alu instid0(VALU_DEP_1)
	v_add_nc_u32_e32 v1, 0x60000000, v1
; %bb.869:                              ;   in Loop: Header=BB0_7 Depth=1
	s_or_b32 exec_lo, exec_lo, s88
.LBB0_870:                              ;   in Loop: Header=BB0_7 Depth=1
	s_and_not1_saveexec_b32 s87, s87
; %bb.871:                              ;   in Loop: Header=BB0_7 Depth=1
	s_delay_alu instid0(VALU_DEP_1)
	v_add_nc_u32_e32 v1, 0x64000000, v1
; %bb.872:                              ;   in Loop: Header=BB0_7 Depth=1
	s_or_b32 exec_lo, exec_lo, s87
.LBB0_873:                              ;   in Loop: Header=BB0_7 Depth=1
	s_and_not1_saveexec_b32 s86, s86
; %bb.874:                              ;   in Loop: Header=BB0_7 Depth=1
	s_delay_alu instid0(VALU_DEP_1)
	v_add_nc_u32_e32 v1, 0x68000000, v1
; %bb.875:                              ;   in Loop: Header=BB0_7 Depth=1
	s_or_b32 exec_lo, exec_lo, s86
.LBB0_876:                              ;   in Loop: Header=BB0_7 Depth=1
	s_and_not1_saveexec_b32 s85, s85
; %bb.877:                              ;   in Loop: Header=BB0_7 Depth=1
	s_delay_alu instid0(VALU_DEP_1)
	v_add_nc_u32_e32 v1, 0x6c000000, v1
; %bb.878:                              ;   in Loop: Header=BB0_7 Depth=1
	s_or_b32 exec_lo, exec_lo, s85
.LBB0_879:                              ;   in Loop: Header=BB0_7 Depth=1
	s_and_not1_saveexec_b32 s84, s84
; %bb.880:                              ;   in Loop: Header=BB0_7 Depth=1
	s_delay_alu instid0(VALU_DEP_1)
	v_add_nc_u32_e32 v1, 0x70000000, v1
; %bb.881:                              ;   in Loop: Header=BB0_7 Depth=1
	s_or_b32 exec_lo, exec_lo, s84
.LBB0_882:                              ;   in Loop: Header=BB0_7 Depth=1
	s_and_not1_saveexec_b32 s83, s83
; %bb.883:                              ;   in Loop: Header=BB0_7 Depth=1
	s_delay_alu instid0(VALU_DEP_1)
	v_add_nc_u32_e32 v1, 0x74000000, v1
; %bb.884:                              ;   in Loop: Header=BB0_7 Depth=1
	s_or_b32 exec_lo, exec_lo, s83
.LBB0_885:                              ;   in Loop: Header=BB0_7 Depth=1
	s_and_not1_saveexec_b32 s82, s82
; %bb.886:                              ;   in Loop: Header=BB0_7 Depth=1
	s_delay_alu instid0(VALU_DEP_1)
	v_add_nc_u32_e32 v1, 0x78000000, v1
; %bb.887:                              ;   in Loop: Header=BB0_7 Depth=1
	s_or_b32 exec_lo, exec_lo, s82
.LBB0_888:                              ;   in Loop: Header=BB0_7 Depth=1
	s_and_not1_saveexec_b32 s81, s81
; %bb.889:                              ;   in Loop: Header=BB0_7 Depth=1
	s_delay_alu instid0(VALU_DEP_1)
	v_add_nc_u32_e32 v1, 0x7c000000, v1
; %bb.890:                              ;   in Loop: Header=BB0_7 Depth=1
	s_or_b32 exec_lo, exec_lo, s81
.LBB0_891:                              ;   in Loop: Header=BB0_7 Depth=1
	s_delay_alu instid0(SALU_CYCLE_1)
	s_or_b32 exec_lo, exec_lo, s80
	v_lshl_add_u32 v8, s63, 12, v10
	v_mov_b32_e32 v11, 0x7c
	s_or_b32 s80, s33, 8
	s_mov_b32 s63, exec_lo
	global_store_b32 v8, v1, s[34:35] scale_offset
	s_wait_xcnt 0x0
	v_cmpx_lt_u32_e64 s80, v0
	s_cbranch_execz .LBB0_955
; %bb.892:                              ;   in Loop: Header=BB0_7 Depth=1
	s_add_co_i32 s81, s62, 0
	v_mov_b32_e32 v11, 0x7c
	v_mov_b32_e32 v1, s81
	s_mov_b32 s81, exec_lo
	ds_load_2addr_b64 v[12:15], v1 offset0:24 offset1:25
	ds_load_b64 v[16:17], v1 offset:208
	s_wait_dscnt 0x1
	v_mul_f64_e32 v[8:9], v[4:5], v[14:15]
	s_delay_alu instid0(VALU_DEP_1) | instskip(SKIP_1) | instid1(VALU_DEP_1)
	v_fmac_f64_e32 v[8:9], v[2:3], v[12:13]
	s_wait_dscnt 0x0
	v_fmac_f64_e32 v[8:9], v[6:7], v[16:17]
	s_delay_alu instid0(VALU_DEP_1)
	v_cmpx_ngt_f64_e32 s[60:61], v[8:9]
	s_cbranch_execz .LBB0_954
; %bb.893:                              ;   in Loop: Header=BB0_7 Depth=1
	v_mov_b32_e32 v11, 0x78
	s_mov_b32 s82, exec_lo
	v_cmpx_ngt_f64_e32 s[66:67], v[8:9]
	s_cbranch_execz .LBB0_953
; %bb.894:                              ;   in Loop: Header=BB0_7 Depth=1
	v_mov_b32_e32 v11, 0x74
	s_mov_b32 s83, exec_lo
	;; [unrolled: 5-line block ×21, first 2 shown]
	v_cmpx_ngt_f64_e32 s[18:19], v[8:9]
	s_cbranch_execz .LBB0_933
; %bb.914:                              ;   in Loop: Header=BB0_7 Depth=1
	v_mov_b32_e32 v11, 36
	v_cmp_ngt_f64_e32 vcc_lo, s[16:17], v[8:9]
	s_mov_b32 vcc_hi, exec_lo
	s_delay_alu instid0(SALU_CYCLE_1)
	s_and_b32 vcc_lo, vcc_hi, vcc_lo
	v_writelane_b32 v18, vcc_hi, 0
	s_mov_b32 exec_lo, vcc_lo
	s_cbranch_execz .LBB0_932
; %bb.915:                              ;   in Loop: Header=BB0_7 Depth=1
	v_mov_b32_e32 v11, 32
	v_cmp_ngt_f64_e32 vcc_lo, s[50:51], v[8:9]
	s_mov_b32 vcc_hi, exec_lo
	s_delay_alu instid0(SALU_CYCLE_1)
	s_and_b32 vcc_lo, vcc_hi, vcc_lo
	v_writelane_b32 v18, vcc_hi, 1
	s_mov_b32 exec_lo, vcc_lo
	;; [unrolled: 9-line block ×8, first 2 shown]
	s_cbranch_execz .LBB0_925
; %bb.922:                              ;   in Loop: Header=BB0_7 Depth=1
	v_mov_b32_e32 v11, 0
	s_mov_b32 vcc_hi, exec_lo
	v_cmpx_gt_f64_e32 s[36:37], v[8:9]
; %bb.923:                              ;   in Loop: Header=BB0_7 Depth=1
	v_mov_b32_e32 v11, 4
; %bb.924:                              ;   in Loop: Header=BB0_7 Depth=1
	s_or_b32 exec_lo, exec_lo, vcc_hi
.LBB0_925:                              ;   in Loop: Header=BB0_7 Depth=1
	s_delay_alu instid0(VALU_DEP_1)
	v_readlane_b32 vcc_lo, v18, 8
	s_or_b32 exec_lo, exec_lo, vcc_lo
.LBB0_926:                              ;   in Loop: Header=BB0_7 Depth=1
	s_delay_alu instid0(VALU_DEP_1)
	v_readlane_b32 vcc_lo, v18, 6
	s_or_b32 exec_lo, exec_lo, vcc_lo
.LBB0_927:                              ;   in Loop: Header=BB0_7 Depth=1
	s_delay_alu instid0(VALU_DEP_1)
	v_readlane_b32 vcc_lo, v18, 5
	s_or_b32 exec_lo, exec_lo, vcc_lo
.LBB0_928:                              ;   in Loop: Header=BB0_7 Depth=1
	s_delay_alu instid0(VALU_DEP_1)
	v_readlane_b32 vcc_lo, v18, 4
	s_or_b32 exec_lo, exec_lo, vcc_lo
.LBB0_929:                              ;   in Loop: Header=BB0_7 Depth=1
	s_delay_alu instid0(VALU_DEP_1)
	v_readlane_b32 vcc_lo, v18, 3
	s_or_b32 exec_lo, exec_lo, vcc_lo
.LBB0_930:                              ;   in Loop: Header=BB0_7 Depth=1
	s_delay_alu instid0(VALU_DEP_1)
	v_readlane_b32 vcc_lo, v18, 2
	s_or_b32 exec_lo, exec_lo, vcc_lo
.LBB0_931:                              ;   in Loop: Header=BB0_7 Depth=1
	s_delay_alu instid0(VALU_DEP_1)
	v_readlane_b32 vcc_lo, v18, 1
	s_or_b32 exec_lo, exec_lo, vcc_lo
.LBB0_932:                              ;   in Loop: Header=BB0_7 Depth=1
	s_delay_alu instid0(VALU_DEP_1)
	v_readlane_b32 vcc_lo, v18, 0
	s_or_b32 exec_lo, exec_lo, vcc_lo
.LBB0_933:                              ;   in Loop: Header=BB0_7 Depth=1
	s_delay_alu instid0(SALU_CYCLE_1)
	s_or_b32 exec_lo, exec_lo, s104
.LBB0_934:                              ;   in Loop: Header=BB0_7 Depth=1
	s_delay_alu instid0(SALU_CYCLE_1)
	s_or_b32 exec_lo, exec_lo, s101
.LBB0_935:                              ;   in Loop: Header=BB0_7 Depth=1
	s_delay_alu instid0(SALU_CYCLE_1)
	s_or_b32 exec_lo, exec_lo, s100
.LBB0_936:                              ;   in Loop: Header=BB0_7 Depth=1
	s_delay_alu instid0(SALU_CYCLE_1)
	s_or_b32 exec_lo, exec_lo, s99
.LBB0_937:                              ;   in Loop: Header=BB0_7 Depth=1
	s_delay_alu instid0(SALU_CYCLE_1)
	s_or_b32 exec_lo, exec_lo, s98
.LBB0_938:                              ;   in Loop: Header=BB0_7 Depth=1
	s_delay_alu instid0(SALU_CYCLE_1)
	s_or_b32 exec_lo, exec_lo, s97
.LBB0_939:                              ;   in Loop: Header=BB0_7 Depth=1
	s_delay_alu instid0(SALU_CYCLE_1)
	s_or_b32 exec_lo, exec_lo, s96
.LBB0_940:                              ;   in Loop: Header=BB0_7 Depth=1
	s_delay_alu instid0(SALU_CYCLE_1)
	s_or_b32 exec_lo, exec_lo, s95
.LBB0_941:                              ;   in Loop: Header=BB0_7 Depth=1
	s_delay_alu instid0(SALU_CYCLE_1)
	s_or_b32 exec_lo, exec_lo, s94
.LBB0_942:                              ;   in Loop: Header=BB0_7 Depth=1
	s_delay_alu instid0(SALU_CYCLE_1)
	s_or_b32 exec_lo, exec_lo, s93
.LBB0_943:                              ;   in Loop: Header=BB0_7 Depth=1
	s_delay_alu instid0(SALU_CYCLE_1)
	s_or_b32 exec_lo, exec_lo, s92
.LBB0_944:                              ;   in Loop: Header=BB0_7 Depth=1
	s_delay_alu instid0(SALU_CYCLE_1)
	s_or_b32 exec_lo, exec_lo, s91
.LBB0_945:                              ;   in Loop: Header=BB0_7 Depth=1
	s_delay_alu instid0(SALU_CYCLE_1)
	s_or_b32 exec_lo, exec_lo, s90
.LBB0_946:                              ;   in Loop: Header=BB0_7 Depth=1
	s_delay_alu instid0(SALU_CYCLE_1)
	s_or_b32 exec_lo, exec_lo, s89
.LBB0_947:                              ;   in Loop: Header=BB0_7 Depth=1
	s_delay_alu instid0(SALU_CYCLE_1)
	s_or_b32 exec_lo, exec_lo, s88
.LBB0_948:                              ;   in Loop: Header=BB0_7 Depth=1
	s_delay_alu instid0(SALU_CYCLE_1)
	s_or_b32 exec_lo, exec_lo, s87
.LBB0_949:                              ;   in Loop: Header=BB0_7 Depth=1
	s_delay_alu instid0(SALU_CYCLE_1)
	s_or_b32 exec_lo, exec_lo, s86
.LBB0_950:                              ;   in Loop: Header=BB0_7 Depth=1
	s_delay_alu instid0(SALU_CYCLE_1)
	s_or_b32 exec_lo, exec_lo, s85
.LBB0_951:                              ;   in Loop: Header=BB0_7 Depth=1
	s_delay_alu instid0(SALU_CYCLE_1)
	s_or_b32 exec_lo, exec_lo, s84
.LBB0_952:                              ;   in Loop: Header=BB0_7 Depth=1
	s_delay_alu instid0(SALU_CYCLE_1)
	s_or_b32 exec_lo, exec_lo, s83
.LBB0_953:                              ;   in Loop: Header=BB0_7 Depth=1
	s_delay_alu instid0(SALU_CYCLE_1)
	s_or_b32 exec_lo, exec_lo, s82
.LBB0_954:                              ;   in Loop: Header=BB0_7 Depth=1
	s_delay_alu instid0(SALU_CYCLE_1)
	s_or_b32 exec_lo, exec_lo, s81
.LBB0_955:                              ;   in Loop: Header=BB0_7 Depth=1
	s_delay_alu instid0(SALU_CYCLE_1) | instskip(SKIP_1) | instid1(SALU_CYCLE_1)
	s_or_b32 exec_lo, exec_lo, s63
	s_or_b32 s63, s33, 9
	v_cmp_ge_u32_e32 vcc_lo, s63, v0
	s_and_saveexec_b32 s63, vcc_lo
	s_delay_alu instid0(SALU_CYCLE_1)
	s_xor_b32 s63, exec_lo, s63
; %bb.956:                              ;   in Loop: Header=BB0_7 Depth=1
	v_or_b32_e32 v11, 0x7c00, v11
; %bb.957:                              ;   in Loop: Header=BB0_7 Depth=1
	s_and_not1_saveexec_b32 s63, s63
	s_cbranch_execz .LBB0_1081
; %bb.958:                              ;   in Loop: Header=BB0_7 Depth=1
	s_add_co_i32 s81, s62, 0
	s_delay_alu instid0(SALU_CYCLE_1)
	v_mov_b32_e32 v1, s81
	s_mov_b32 s81, exec_lo
	ds_load_2addr_b64 v[12:15], v1 offset0:27 offset1:28
	ds_load_b64 v[16:17], v1 offset:232
	s_wait_dscnt 0x1
	v_mul_f64_e32 v[8:9], v[4:5], v[14:15]
	s_delay_alu instid0(VALU_DEP_1) | instskip(SKIP_1) | instid1(VALU_DEP_1)
	v_fmac_f64_e32 v[8:9], v[2:3], v[12:13]
	s_wait_dscnt 0x0
	v_fmac_f64_e32 v[8:9], v[6:7], v[16:17]
	s_delay_alu instid0(VALU_DEP_1)
	v_cmpx_ngt_f64_e32 s[60:61], v[8:9]
	s_xor_b32 s81, exec_lo, s81
	s_cbranch_execz .LBB0_1078
; %bb.959:                              ;   in Loop: Header=BB0_7 Depth=1
	s_mov_b32 s82, exec_lo
	v_cmpx_ngt_f64_e32 s[66:67], v[8:9]
	s_xor_b32 s82, exec_lo, s82
	s_cbranch_execz .LBB0_1075
; %bb.960:                              ;   in Loop: Header=BB0_7 Depth=1
	s_mov_b32 s83, exec_lo
	v_cmpx_ngt_f64_e32 s[64:65], v[8:9]
	s_xor_b32 s83, exec_lo, s83
	s_cbranch_execz .LBB0_1072
; %bb.961:                              ;   in Loop: Header=BB0_7 Depth=1
	s_mov_b32 s84, exec_lo
	v_cmpx_ngt_f64_e32 s[58:59], v[8:9]
	s_xor_b32 s84, exec_lo, s84
	s_cbranch_execz .LBB0_1069
; %bb.962:                              ;   in Loop: Header=BB0_7 Depth=1
	s_mov_b32 s85, exec_lo
	v_cmpx_ngt_f64_e32 s[56:57], v[8:9]
	s_xor_b32 s85, exec_lo, s85
	s_cbranch_execz .LBB0_1066
; %bb.963:                              ;   in Loop: Header=BB0_7 Depth=1
	s_mov_b32 s86, exec_lo
	v_cmpx_ngt_f64_e32 s[54:55], v[8:9]
	s_xor_b32 s86, exec_lo, s86
	s_cbranch_execz .LBB0_1063
; %bb.964:                              ;   in Loop: Header=BB0_7 Depth=1
	s_mov_b32 s87, exec_lo
	v_cmpx_ngt_f64_e32 s[52:53], v[8:9]
	s_xor_b32 s87, exec_lo, s87
	s_cbranch_execz .LBB0_1060
; %bb.965:                              ;   in Loop: Header=BB0_7 Depth=1
	s_mov_b32 s88, exec_lo
	v_cmpx_ngt_f64_e32 s[14:15], v[8:9]
	s_xor_b32 s88, exec_lo, s88
	s_cbranch_execz .LBB0_1057
; %bb.966:                              ;   in Loop: Header=BB0_7 Depth=1
	s_mov_b32 s89, exec_lo
	v_cmpx_ngt_f64_e32 s[12:13], v[8:9]
	s_xor_b32 s89, exec_lo, s89
	s_cbranch_execz .LBB0_1054
; %bb.967:                              ;   in Loop: Header=BB0_7 Depth=1
	s_mov_b32 s90, exec_lo
	v_cmpx_ngt_f64_e32 s[10:11], v[8:9]
	s_xor_b32 s90, exec_lo, s90
	s_cbranch_execz .LBB0_1051
; %bb.968:                              ;   in Loop: Header=BB0_7 Depth=1
	s_mov_b32 s91, exec_lo
	v_cmpx_ngt_f64_e32 s[8:9], v[8:9]
	s_xor_b32 s91, exec_lo, s91
	s_cbranch_execz .LBB0_1048
; %bb.969:                              ;   in Loop: Header=BB0_7 Depth=1
	s_mov_b32 s92, exec_lo
	v_cmpx_ngt_f64_e32 s[6:7], v[8:9]
	s_xor_b32 s92, exec_lo, s92
	s_cbranch_execz .LBB0_1045
; %bb.970:                              ;   in Loop: Header=BB0_7 Depth=1
	s_mov_b32 s93, exec_lo
	v_cmpx_ngt_f64_e32 s[4:5], v[8:9]
	s_xor_b32 s93, exec_lo, s93
	s_cbranch_execz .LBB0_1042
; %bb.971:                              ;   in Loop: Header=BB0_7 Depth=1
	s_mov_b32 s94, exec_lo
	v_cmpx_ngt_f64_e32 s[2:3], v[8:9]
	s_xor_b32 s94, exec_lo, s94
	s_cbranch_execz .LBB0_1039
; %bb.972:                              ;   in Loop: Header=BB0_7 Depth=1
	s_mov_b32 s95, exec_lo
	v_cmpx_ngt_f64_e32 s[0:1], v[8:9]
	s_xor_b32 s95, exec_lo, s95
	s_cbranch_execz .LBB0_1036
; %bb.973:                              ;   in Loop: Header=BB0_7 Depth=1
	s_mov_b32 s96, exec_lo
	v_cmpx_ngt_f64_e32 s[30:31], v[8:9]
	s_xor_b32 s96, exec_lo, s96
	s_cbranch_execz .LBB0_1033
; %bb.974:                              ;   in Loop: Header=BB0_7 Depth=1
	s_mov_b32 s97, exec_lo
	v_cmpx_ngt_f64_e32 s[28:29], v[8:9]
	s_xor_b32 s97, exec_lo, s97
	s_cbranch_execz .LBB0_1030
; %bb.975:                              ;   in Loop: Header=BB0_7 Depth=1
	s_mov_b32 s98, exec_lo
	v_cmpx_ngt_f64_e32 s[26:27], v[8:9]
	s_xor_b32 s98, exec_lo, s98
	s_cbranch_execz .LBB0_1027
; %bb.976:                              ;   in Loop: Header=BB0_7 Depth=1
	s_mov_b32 s99, exec_lo
	v_cmpx_ngt_f64_e32 s[24:25], v[8:9]
	s_xor_b32 s99, exec_lo, s99
	s_cbranch_execz .LBB0_1024
; %bb.977:                              ;   in Loop: Header=BB0_7 Depth=1
	s_mov_b32 s100, exec_lo
	v_cmpx_ngt_f64_e32 s[22:23], v[8:9]
	s_xor_b32 s100, exec_lo, s100
	s_cbranch_execz .LBB0_1021
; %bb.978:                              ;   in Loop: Header=BB0_7 Depth=1
	s_mov_b32 s101, exec_lo
	v_cmpx_ngt_f64_e32 s[20:21], v[8:9]
	s_xor_b32 s101, exec_lo, s101
	s_cbranch_execz .LBB0_1018
; %bb.979:                              ;   in Loop: Header=BB0_7 Depth=1
	s_mov_b32 s104, exec_lo
	v_cmpx_ngt_f64_e32 s[18:19], v[8:9]
	s_xor_b32 s104, exec_lo, s104
	s_cbranch_execz .LBB0_1015
; %bb.980:                              ;   in Loop: Header=BB0_7 Depth=1
	s_mov_b32 vcc_hi, exec_lo
	v_cmpx_ngt_f64_e32 s[16:17], v[8:9]
	s_xor_b32 vcc_hi, exec_lo, vcc_hi
	s_delay_alu instid0(SALU_CYCLE_1)
	v_writelane_b32 v18, vcc_hi, 0
	s_cbranch_execz .LBB0_1012
; %bb.981:                              ;   in Loop: Header=BB0_7 Depth=1
	s_mov_b32 vcc_hi, exec_lo
	v_cmpx_ngt_f64_e32 s[50:51], v[8:9]
	s_xor_b32 vcc_hi, exec_lo, vcc_hi
	s_delay_alu instid0(SALU_CYCLE_1)
	v_writelane_b32 v18, vcc_hi, 1
	;; [unrolled: 7-line block ×8, first 2 shown]
	s_cbranch_execz .LBB0_991
; %bb.988:                              ;   in Loop: Header=BB0_7 Depth=1
	s_mov_b32 vcc_lo, exec_lo
	v_cmpx_gt_f64_e32 s[36:37], v[8:9]
; %bb.989:                              ;   in Loop: Header=BB0_7 Depth=1
	v_or_b32_e32 v11, 0x400, v11
; %bb.990:                              ;   in Loop: Header=BB0_7 Depth=1
	s_or_b32 exec_lo, exec_lo, vcc_lo
.LBB0_991:                              ;   in Loop: Header=BB0_7 Depth=1
	s_delay_alu instid0(VALU_DEP_1)
	v_readlane_b32 vcc_lo, v18, 8
	s_and_not1_saveexec_b32 vcc_lo, vcc_lo
; %bb.992:                              ;   in Loop: Header=BB0_7 Depth=1
	v_or_b32_e32 v11, 0x800, v11
; %bb.993:                              ;   in Loop: Header=BB0_7 Depth=1
	s_or_b32 exec_lo, exec_lo, vcc_lo
.LBB0_994:                              ;   in Loop: Header=BB0_7 Depth=1
	s_delay_alu instid0(VALU_DEP_1)
	v_readlane_b32 vcc_lo, v18, 6
	s_and_not1_saveexec_b32 vcc_lo, vcc_lo
; %bb.995:                              ;   in Loop: Header=BB0_7 Depth=1
	v_or_b32_e32 v11, 0xc00, v11
; %bb.996:                              ;   in Loop: Header=BB0_7 Depth=1
	s_or_b32 exec_lo, exec_lo, vcc_lo
.LBB0_997:                              ;   in Loop: Header=BB0_7 Depth=1
	s_delay_alu instid0(VALU_DEP_1)
	v_readlane_b32 vcc_lo, v18, 5
	s_and_not1_saveexec_b32 vcc_lo, vcc_lo
; %bb.998:                              ;   in Loop: Header=BB0_7 Depth=1
	v_or_b32_e32 v11, 0x1000, v11
; %bb.999:                              ;   in Loop: Header=BB0_7 Depth=1
	s_or_b32 exec_lo, exec_lo, vcc_lo
.LBB0_1000:                             ;   in Loop: Header=BB0_7 Depth=1
	s_delay_alu instid0(VALU_DEP_1)
	v_readlane_b32 vcc_lo, v18, 4
	s_and_not1_saveexec_b32 vcc_lo, vcc_lo
; %bb.1001:                             ;   in Loop: Header=BB0_7 Depth=1
	v_or_b32_e32 v11, 0x1400, v11
; %bb.1002:                             ;   in Loop: Header=BB0_7 Depth=1
	s_or_b32 exec_lo, exec_lo, vcc_lo
.LBB0_1003:                             ;   in Loop: Header=BB0_7 Depth=1
	s_delay_alu instid0(VALU_DEP_1)
	v_readlane_b32 vcc_lo, v18, 3
	s_and_not1_saveexec_b32 vcc_lo, vcc_lo
; %bb.1004:                             ;   in Loop: Header=BB0_7 Depth=1
	v_or_b32_e32 v11, 0x1800, v11
; %bb.1005:                             ;   in Loop: Header=BB0_7 Depth=1
	s_or_b32 exec_lo, exec_lo, vcc_lo
.LBB0_1006:                             ;   in Loop: Header=BB0_7 Depth=1
	s_delay_alu instid0(VALU_DEP_1)
	v_readlane_b32 vcc_lo, v18, 2
	s_and_not1_saveexec_b32 vcc_lo, vcc_lo
; %bb.1007:                             ;   in Loop: Header=BB0_7 Depth=1
	v_or_b32_e32 v11, 0x1c00, v11
; %bb.1008:                             ;   in Loop: Header=BB0_7 Depth=1
	s_or_b32 exec_lo, exec_lo, vcc_lo
.LBB0_1009:                             ;   in Loop: Header=BB0_7 Depth=1
	s_delay_alu instid0(VALU_DEP_1)
	v_readlane_b32 vcc_lo, v18, 1
	s_and_not1_saveexec_b32 vcc_lo, vcc_lo
; %bb.1010:                             ;   in Loop: Header=BB0_7 Depth=1
	v_or_b32_e32 v11, 0x2000, v11
; %bb.1011:                             ;   in Loop: Header=BB0_7 Depth=1
	s_or_b32 exec_lo, exec_lo, vcc_lo
.LBB0_1012:                             ;   in Loop: Header=BB0_7 Depth=1
	s_delay_alu instid0(VALU_DEP_1)
	v_readlane_b32 vcc_lo, v18, 0
	s_and_not1_saveexec_b32 vcc_lo, vcc_lo
; %bb.1013:                             ;   in Loop: Header=BB0_7 Depth=1
	v_or_b32_e32 v11, 0x2400, v11
; %bb.1014:                             ;   in Loop: Header=BB0_7 Depth=1
	s_or_b32 exec_lo, exec_lo, vcc_lo
.LBB0_1015:                             ;   in Loop: Header=BB0_7 Depth=1
	s_and_not1_saveexec_b32 s104, s104
; %bb.1016:                             ;   in Loop: Header=BB0_7 Depth=1
	s_delay_alu instid0(VALU_DEP_1)
	v_or_b32_e32 v11, 0x2800, v11
; %bb.1017:                             ;   in Loop: Header=BB0_7 Depth=1
	s_or_b32 exec_lo, exec_lo, s104
.LBB0_1018:                             ;   in Loop: Header=BB0_7 Depth=1
	s_and_not1_saveexec_b32 s101, s101
; %bb.1019:                             ;   in Loop: Header=BB0_7 Depth=1
	s_delay_alu instid0(VALU_DEP_1)
	v_or_b32_e32 v11, 0x2c00, v11
; %bb.1020:                             ;   in Loop: Header=BB0_7 Depth=1
	s_or_b32 exec_lo, exec_lo, s101
.LBB0_1021:                             ;   in Loop: Header=BB0_7 Depth=1
	s_and_not1_saveexec_b32 s100, s100
; %bb.1022:                             ;   in Loop: Header=BB0_7 Depth=1
	s_delay_alu instid0(VALU_DEP_1)
	v_or_b32_e32 v11, 0x3000, v11
; %bb.1023:                             ;   in Loop: Header=BB0_7 Depth=1
	s_or_b32 exec_lo, exec_lo, s100
.LBB0_1024:                             ;   in Loop: Header=BB0_7 Depth=1
	s_and_not1_saveexec_b32 s99, s99
; %bb.1025:                             ;   in Loop: Header=BB0_7 Depth=1
	s_delay_alu instid0(VALU_DEP_1)
	v_or_b32_e32 v11, 0x3400, v11
; %bb.1026:                             ;   in Loop: Header=BB0_7 Depth=1
	s_or_b32 exec_lo, exec_lo, s99
.LBB0_1027:                             ;   in Loop: Header=BB0_7 Depth=1
	s_and_not1_saveexec_b32 s98, s98
; %bb.1028:                             ;   in Loop: Header=BB0_7 Depth=1
	s_delay_alu instid0(VALU_DEP_1)
	v_or_b32_e32 v11, 0x3800, v11
; %bb.1029:                             ;   in Loop: Header=BB0_7 Depth=1
	s_or_b32 exec_lo, exec_lo, s98
.LBB0_1030:                             ;   in Loop: Header=BB0_7 Depth=1
	s_and_not1_saveexec_b32 s97, s97
; %bb.1031:                             ;   in Loop: Header=BB0_7 Depth=1
	s_delay_alu instid0(VALU_DEP_1)
	v_or_b32_e32 v11, 0x3c00, v11
; %bb.1032:                             ;   in Loop: Header=BB0_7 Depth=1
	s_or_b32 exec_lo, exec_lo, s97
.LBB0_1033:                             ;   in Loop: Header=BB0_7 Depth=1
	s_and_not1_saveexec_b32 s96, s96
; %bb.1034:                             ;   in Loop: Header=BB0_7 Depth=1
	s_delay_alu instid0(VALU_DEP_1)
	v_or_b32_e32 v11, 0x4000, v11
; %bb.1035:                             ;   in Loop: Header=BB0_7 Depth=1
	s_or_b32 exec_lo, exec_lo, s96
.LBB0_1036:                             ;   in Loop: Header=BB0_7 Depth=1
	s_and_not1_saveexec_b32 s95, s95
; %bb.1037:                             ;   in Loop: Header=BB0_7 Depth=1
	s_delay_alu instid0(VALU_DEP_1)
	v_or_b32_e32 v11, 0x4400, v11
; %bb.1038:                             ;   in Loop: Header=BB0_7 Depth=1
	s_or_b32 exec_lo, exec_lo, s95
.LBB0_1039:                             ;   in Loop: Header=BB0_7 Depth=1
	s_and_not1_saveexec_b32 s94, s94
; %bb.1040:                             ;   in Loop: Header=BB0_7 Depth=1
	s_delay_alu instid0(VALU_DEP_1)
	v_or_b32_e32 v11, 0x4800, v11
; %bb.1041:                             ;   in Loop: Header=BB0_7 Depth=1
	s_or_b32 exec_lo, exec_lo, s94
.LBB0_1042:                             ;   in Loop: Header=BB0_7 Depth=1
	s_and_not1_saveexec_b32 s93, s93
; %bb.1043:                             ;   in Loop: Header=BB0_7 Depth=1
	s_delay_alu instid0(VALU_DEP_1)
	v_or_b32_e32 v11, 0x4c00, v11
; %bb.1044:                             ;   in Loop: Header=BB0_7 Depth=1
	s_or_b32 exec_lo, exec_lo, s93
.LBB0_1045:                             ;   in Loop: Header=BB0_7 Depth=1
	s_and_not1_saveexec_b32 s92, s92
; %bb.1046:                             ;   in Loop: Header=BB0_7 Depth=1
	s_delay_alu instid0(VALU_DEP_1)
	v_or_b32_e32 v11, 0x5000, v11
; %bb.1047:                             ;   in Loop: Header=BB0_7 Depth=1
	s_or_b32 exec_lo, exec_lo, s92
.LBB0_1048:                             ;   in Loop: Header=BB0_7 Depth=1
	s_and_not1_saveexec_b32 s91, s91
; %bb.1049:                             ;   in Loop: Header=BB0_7 Depth=1
	s_delay_alu instid0(VALU_DEP_1)
	v_or_b32_e32 v11, 0x5400, v11
; %bb.1050:                             ;   in Loop: Header=BB0_7 Depth=1
	s_or_b32 exec_lo, exec_lo, s91
.LBB0_1051:                             ;   in Loop: Header=BB0_7 Depth=1
	s_and_not1_saveexec_b32 s90, s90
; %bb.1052:                             ;   in Loop: Header=BB0_7 Depth=1
	s_delay_alu instid0(VALU_DEP_1)
	v_or_b32_e32 v11, 0x5800, v11
; %bb.1053:                             ;   in Loop: Header=BB0_7 Depth=1
	s_or_b32 exec_lo, exec_lo, s90
.LBB0_1054:                             ;   in Loop: Header=BB0_7 Depth=1
	s_and_not1_saveexec_b32 s89, s89
; %bb.1055:                             ;   in Loop: Header=BB0_7 Depth=1
	s_delay_alu instid0(VALU_DEP_1)
	v_or_b32_e32 v11, 0x5c00, v11
; %bb.1056:                             ;   in Loop: Header=BB0_7 Depth=1
	s_or_b32 exec_lo, exec_lo, s89
.LBB0_1057:                             ;   in Loop: Header=BB0_7 Depth=1
	s_and_not1_saveexec_b32 s88, s88
; %bb.1058:                             ;   in Loop: Header=BB0_7 Depth=1
	s_delay_alu instid0(VALU_DEP_1)
	v_or_b32_e32 v11, 0x6000, v11
; %bb.1059:                             ;   in Loop: Header=BB0_7 Depth=1
	s_or_b32 exec_lo, exec_lo, s88
.LBB0_1060:                             ;   in Loop: Header=BB0_7 Depth=1
	s_and_not1_saveexec_b32 s87, s87
; %bb.1061:                             ;   in Loop: Header=BB0_7 Depth=1
	s_delay_alu instid0(VALU_DEP_1)
	v_or_b32_e32 v11, 0x6400, v11
; %bb.1062:                             ;   in Loop: Header=BB0_7 Depth=1
	s_or_b32 exec_lo, exec_lo, s87
.LBB0_1063:                             ;   in Loop: Header=BB0_7 Depth=1
	s_and_not1_saveexec_b32 s86, s86
; %bb.1064:                             ;   in Loop: Header=BB0_7 Depth=1
	s_delay_alu instid0(VALU_DEP_1)
	v_or_b32_e32 v11, 0x6800, v11
; %bb.1065:                             ;   in Loop: Header=BB0_7 Depth=1
	s_or_b32 exec_lo, exec_lo, s86
.LBB0_1066:                             ;   in Loop: Header=BB0_7 Depth=1
	s_and_not1_saveexec_b32 s85, s85
; %bb.1067:                             ;   in Loop: Header=BB0_7 Depth=1
	s_delay_alu instid0(VALU_DEP_1)
	v_or_b32_e32 v11, 0x6c00, v11
; %bb.1068:                             ;   in Loop: Header=BB0_7 Depth=1
	s_or_b32 exec_lo, exec_lo, s85
.LBB0_1069:                             ;   in Loop: Header=BB0_7 Depth=1
	s_and_not1_saveexec_b32 s84, s84
; %bb.1070:                             ;   in Loop: Header=BB0_7 Depth=1
	s_delay_alu instid0(VALU_DEP_1)
	v_or_b32_e32 v11, 0x7000, v11
; %bb.1071:                             ;   in Loop: Header=BB0_7 Depth=1
	s_or_b32 exec_lo, exec_lo, s84
.LBB0_1072:                             ;   in Loop: Header=BB0_7 Depth=1
	s_and_not1_saveexec_b32 s83, s83
; %bb.1073:                             ;   in Loop: Header=BB0_7 Depth=1
	s_delay_alu instid0(VALU_DEP_1)
	v_or_b32_e32 v11, 0x7400, v11
; %bb.1074:                             ;   in Loop: Header=BB0_7 Depth=1
	s_or_b32 exec_lo, exec_lo, s83
.LBB0_1075:                             ;   in Loop: Header=BB0_7 Depth=1
	s_and_not1_saveexec_b32 s82, s82
; %bb.1076:                             ;   in Loop: Header=BB0_7 Depth=1
	s_delay_alu instid0(VALU_DEP_1)
	v_or_b32_e32 v11, 0x7800, v11
; %bb.1077:                             ;   in Loop: Header=BB0_7 Depth=1
	s_or_b32 exec_lo, exec_lo, s82
.LBB0_1078:                             ;   in Loop: Header=BB0_7 Depth=1
	s_and_not1_saveexec_b32 s81, s81
; %bb.1079:                             ;   in Loop: Header=BB0_7 Depth=1
	s_delay_alu instid0(VALU_DEP_1)
	v_or_b32_e32 v11, 0x7c00, v11
; %bb.1080:                             ;   in Loop: Header=BB0_7 Depth=1
	s_or_b32 exec_lo, exec_lo, s81
.LBB0_1081:                             ;   in Loop: Header=BB0_7 Depth=1
	s_delay_alu instid0(SALU_CYCLE_1) | instskip(SKIP_1) | instid1(SALU_CYCLE_1)
	s_or_b32 exec_lo, exec_lo, s63
	s_or_b32 s63, s33, 10
	v_cmp_ge_u32_e32 vcc_lo, s63, v0
	s_and_saveexec_b32 s63, vcc_lo
	s_delay_alu instid0(SALU_CYCLE_1)
	s_xor_b32 s63, exec_lo, s63
; %bb.1082:                             ;   in Loop: Header=BB0_7 Depth=1
	v_add_nc_u32_e32 v11, 0x7c0000, v11
; %bb.1083:                             ;   in Loop: Header=BB0_7 Depth=1
	s_and_not1_saveexec_b32 s63, s63
	s_cbranch_execz .LBB0_1207
; %bb.1084:                             ;   in Loop: Header=BB0_7 Depth=1
	s_add_co_i32 s81, s62, 0
	s_delay_alu instid0(SALU_CYCLE_1)
	v_mov_b32_e32 v1, s81
	s_mov_b32 s81, exec_lo
	ds_load_2addr_b64 v[12:15], v1 offset0:30 offset1:31
	ds_load_b64 v[16:17], v1 offset:256
	s_wait_dscnt 0x1
	v_mul_f64_e32 v[8:9], v[4:5], v[14:15]
	s_delay_alu instid0(VALU_DEP_1) | instskip(SKIP_1) | instid1(VALU_DEP_1)
	v_fmac_f64_e32 v[8:9], v[2:3], v[12:13]
	s_wait_dscnt 0x0
	v_fmac_f64_e32 v[8:9], v[6:7], v[16:17]
	s_delay_alu instid0(VALU_DEP_1)
	v_cmpx_ngt_f64_e32 s[60:61], v[8:9]
	s_xor_b32 s81, exec_lo, s81
	s_cbranch_execz .LBB0_1204
; %bb.1085:                             ;   in Loop: Header=BB0_7 Depth=1
	s_mov_b32 s82, exec_lo
	v_cmpx_ngt_f64_e32 s[66:67], v[8:9]
	s_xor_b32 s82, exec_lo, s82
	s_cbranch_execz .LBB0_1201
; %bb.1086:                             ;   in Loop: Header=BB0_7 Depth=1
	s_mov_b32 s83, exec_lo
	;; [unrolled: 5-line block ×21, first 2 shown]
	v_cmpx_ngt_f64_e32 s[18:19], v[8:9]
	s_xor_b32 s104, exec_lo, s104
	s_cbranch_execz .LBB0_1141
; %bb.1106:                             ;   in Loop: Header=BB0_7 Depth=1
	s_mov_b32 vcc_hi, exec_lo
	v_cmpx_ngt_f64_e32 s[16:17], v[8:9]
	s_xor_b32 vcc_hi, exec_lo, vcc_hi
	s_delay_alu instid0(SALU_CYCLE_1)
	v_writelane_b32 v18, vcc_hi, 0
	s_cbranch_execz .LBB0_1138
; %bb.1107:                             ;   in Loop: Header=BB0_7 Depth=1
	s_mov_b32 vcc_hi, exec_lo
	v_cmpx_ngt_f64_e32 s[50:51], v[8:9]
	s_xor_b32 vcc_hi, exec_lo, vcc_hi
	s_delay_alu instid0(SALU_CYCLE_1)
	v_writelane_b32 v18, vcc_hi, 1
	;; [unrolled: 7-line block ×8, first 2 shown]
	s_cbranch_execz .LBB0_1117
; %bb.1114:                             ;   in Loop: Header=BB0_7 Depth=1
	s_mov_b32 vcc_lo, exec_lo
	v_cmpx_gt_f64_e32 s[36:37], v[8:9]
; %bb.1115:                             ;   in Loop: Header=BB0_7 Depth=1
	v_add_nc_u32_e32 v11, 0x40000, v11
; %bb.1116:                             ;   in Loop: Header=BB0_7 Depth=1
	s_or_b32 exec_lo, exec_lo, vcc_lo
.LBB0_1117:                             ;   in Loop: Header=BB0_7 Depth=1
	s_delay_alu instid0(VALU_DEP_1)
	v_readlane_b32 vcc_lo, v18, 8
	s_and_not1_saveexec_b32 vcc_lo, vcc_lo
; %bb.1118:                             ;   in Loop: Header=BB0_7 Depth=1
	v_add_nc_u32_e32 v11, 0x80000, v11
; %bb.1119:                             ;   in Loop: Header=BB0_7 Depth=1
	s_or_b32 exec_lo, exec_lo, vcc_lo
.LBB0_1120:                             ;   in Loop: Header=BB0_7 Depth=1
	s_delay_alu instid0(VALU_DEP_1)
	v_readlane_b32 vcc_lo, v18, 6
	s_and_not1_saveexec_b32 vcc_lo, vcc_lo
; %bb.1121:                             ;   in Loop: Header=BB0_7 Depth=1
	v_add_nc_u32_e32 v11, 0xc0000, v11
; %bb.1122:                             ;   in Loop: Header=BB0_7 Depth=1
	s_or_b32 exec_lo, exec_lo, vcc_lo
.LBB0_1123:                             ;   in Loop: Header=BB0_7 Depth=1
	s_delay_alu instid0(VALU_DEP_1)
	v_readlane_b32 vcc_lo, v18, 5
	s_and_not1_saveexec_b32 vcc_lo, vcc_lo
; %bb.1124:                             ;   in Loop: Header=BB0_7 Depth=1
	v_add_nc_u32_e32 v11, 0x100000, v11
; %bb.1125:                             ;   in Loop: Header=BB0_7 Depth=1
	s_or_b32 exec_lo, exec_lo, vcc_lo
.LBB0_1126:                             ;   in Loop: Header=BB0_7 Depth=1
	s_delay_alu instid0(VALU_DEP_1)
	v_readlane_b32 vcc_lo, v18, 4
	s_and_not1_saveexec_b32 vcc_lo, vcc_lo
; %bb.1127:                             ;   in Loop: Header=BB0_7 Depth=1
	v_add_nc_u32_e32 v11, 0x140000, v11
; %bb.1128:                             ;   in Loop: Header=BB0_7 Depth=1
	s_or_b32 exec_lo, exec_lo, vcc_lo
.LBB0_1129:                             ;   in Loop: Header=BB0_7 Depth=1
	s_delay_alu instid0(VALU_DEP_1)
	v_readlane_b32 vcc_lo, v18, 3
	s_and_not1_saveexec_b32 vcc_lo, vcc_lo
; %bb.1130:                             ;   in Loop: Header=BB0_7 Depth=1
	v_add_nc_u32_e32 v11, 0x180000, v11
; %bb.1131:                             ;   in Loop: Header=BB0_7 Depth=1
	s_or_b32 exec_lo, exec_lo, vcc_lo
.LBB0_1132:                             ;   in Loop: Header=BB0_7 Depth=1
	s_delay_alu instid0(VALU_DEP_1)
	v_readlane_b32 vcc_lo, v18, 2
	s_and_not1_saveexec_b32 vcc_lo, vcc_lo
; %bb.1133:                             ;   in Loop: Header=BB0_7 Depth=1
	v_add_nc_u32_e32 v11, 0x1c0000, v11
; %bb.1134:                             ;   in Loop: Header=BB0_7 Depth=1
	s_or_b32 exec_lo, exec_lo, vcc_lo
.LBB0_1135:                             ;   in Loop: Header=BB0_7 Depth=1
	s_delay_alu instid0(VALU_DEP_1)
	v_readlane_b32 vcc_lo, v18, 1
	s_and_not1_saveexec_b32 vcc_lo, vcc_lo
; %bb.1136:                             ;   in Loop: Header=BB0_7 Depth=1
	v_add_nc_u32_e32 v11, 0x200000, v11
; %bb.1137:                             ;   in Loop: Header=BB0_7 Depth=1
	s_or_b32 exec_lo, exec_lo, vcc_lo
.LBB0_1138:                             ;   in Loop: Header=BB0_7 Depth=1
	s_delay_alu instid0(VALU_DEP_1)
	v_readlane_b32 vcc_lo, v18, 0
	s_and_not1_saveexec_b32 vcc_lo, vcc_lo
; %bb.1139:                             ;   in Loop: Header=BB0_7 Depth=1
	v_add_nc_u32_e32 v11, 0x240000, v11
; %bb.1140:                             ;   in Loop: Header=BB0_7 Depth=1
	s_or_b32 exec_lo, exec_lo, vcc_lo
.LBB0_1141:                             ;   in Loop: Header=BB0_7 Depth=1
	s_and_not1_saveexec_b32 s104, s104
; %bb.1142:                             ;   in Loop: Header=BB0_7 Depth=1
	s_delay_alu instid0(VALU_DEP_1)
	v_add_nc_u32_e32 v11, 0x280000, v11
; %bb.1143:                             ;   in Loop: Header=BB0_7 Depth=1
	s_or_b32 exec_lo, exec_lo, s104
.LBB0_1144:                             ;   in Loop: Header=BB0_7 Depth=1
	s_and_not1_saveexec_b32 s101, s101
; %bb.1145:                             ;   in Loop: Header=BB0_7 Depth=1
	s_delay_alu instid0(VALU_DEP_1)
	v_add_nc_u32_e32 v11, 0x2c0000, v11
; %bb.1146:                             ;   in Loop: Header=BB0_7 Depth=1
	s_or_b32 exec_lo, exec_lo, s101
.LBB0_1147:                             ;   in Loop: Header=BB0_7 Depth=1
	s_and_not1_saveexec_b32 s100, s100
; %bb.1148:                             ;   in Loop: Header=BB0_7 Depth=1
	s_delay_alu instid0(VALU_DEP_1)
	v_add_nc_u32_e32 v11, 0x300000, v11
; %bb.1149:                             ;   in Loop: Header=BB0_7 Depth=1
	s_or_b32 exec_lo, exec_lo, s100
.LBB0_1150:                             ;   in Loop: Header=BB0_7 Depth=1
	s_and_not1_saveexec_b32 s99, s99
; %bb.1151:                             ;   in Loop: Header=BB0_7 Depth=1
	s_delay_alu instid0(VALU_DEP_1)
	v_add_nc_u32_e32 v11, 0x340000, v11
; %bb.1152:                             ;   in Loop: Header=BB0_7 Depth=1
	s_or_b32 exec_lo, exec_lo, s99
.LBB0_1153:                             ;   in Loop: Header=BB0_7 Depth=1
	s_and_not1_saveexec_b32 s98, s98
; %bb.1154:                             ;   in Loop: Header=BB0_7 Depth=1
	s_delay_alu instid0(VALU_DEP_1)
	v_add_nc_u32_e32 v11, 0x380000, v11
; %bb.1155:                             ;   in Loop: Header=BB0_7 Depth=1
	s_or_b32 exec_lo, exec_lo, s98
.LBB0_1156:                             ;   in Loop: Header=BB0_7 Depth=1
	s_and_not1_saveexec_b32 s97, s97
; %bb.1157:                             ;   in Loop: Header=BB0_7 Depth=1
	s_delay_alu instid0(VALU_DEP_1)
	v_add_nc_u32_e32 v11, 0x3c0000, v11
; %bb.1158:                             ;   in Loop: Header=BB0_7 Depth=1
	s_or_b32 exec_lo, exec_lo, s97
.LBB0_1159:                             ;   in Loop: Header=BB0_7 Depth=1
	s_and_not1_saveexec_b32 s96, s96
; %bb.1160:                             ;   in Loop: Header=BB0_7 Depth=1
	s_delay_alu instid0(VALU_DEP_1)
	v_add_nc_u32_e32 v11, 0x400000, v11
; %bb.1161:                             ;   in Loop: Header=BB0_7 Depth=1
	s_or_b32 exec_lo, exec_lo, s96
.LBB0_1162:                             ;   in Loop: Header=BB0_7 Depth=1
	s_and_not1_saveexec_b32 s95, s95
; %bb.1163:                             ;   in Loop: Header=BB0_7 Depth=1
	s_delay_alu instid0(VALU_DEP_1)
	v_add_nc_u32_e32 v11, 0x440000, v11
; %bb.1164:                             ;   in Loop: Header=BB0_7 Depth=1
	s_or_b32 exec_lo, exec_lo, s95
.LBB0_1165:                             ;   in Loop: Header=BB0_7 Depth=1
	s_and_not1_saveexec_b32 s94, s94
; %bb.1166:                             ;   in Loop: Header=BB0_7 Depth=1
	s_delay_alu instid0(VALU_DEP_1)
	v_add_nc_u32_e32 v11, 0x480000, v11
; %bb.1167:                             ;   in Loop: Header=BB0_7 Depth=1
	s_or_b32 exec_lo, exec_lo, s94
.LBB0_1168:                             ;   in Loop: Header=BB0_7 Depth=1
	s_and_not1_saveexec_b32 s93, s93
; %bb.1169:                             ;   in Loop: Header=BB0_7 Depth=1
	s_delay_alu instid0(VALU_DEP_1)
	v_add_nc_u32_e32 v11, 0x4c0000, v11
; %bb.1170:                             ;   in Loop: Header=BB0_7 Depth=1
	s_or_b32 exec_lo, exec_lo, s93
.LBB0_1171:                             ;   in Loop: Header=BB0_7 Depth=1
	s_and_not1_saveexec_b32 s92, s92
; %bb.1172:                             ;   in Loop: Header=BB0_7 Depth=1
	s_delay_alu instid0(VALU_DEP_1)
	v_add_nc_u32_e32 v11, 0x500000, v11
; %bb.1173:                             ;   in Loop: Header=BB0_7 Depth=1
	s_or_b32 exec_lo, exec_lo, s92
.LBB0_1174:                             ;   in Loop: Header=BB0_7 Depth=1
	s_and_not1_saveexec_b32 s91, s91
; %bb.1175:                             ;   in Loop: Header=BB0_7 Depth=1
	s_delay_alu instid0(VALU_DEP_1)
	v_add_nc_u32_e32 v11, 0x540000, v11
; %bb.1176:                             ;   in Loop: Header=BB0_7 Depth=1
	s_or_b32 exec_lo, exec_lo, s91
.LBB0_1177:                             ;   in Loop: Header=BB0_7 Depth=1
	s_and_not1_saveexec_b32 s90, s90
; %bb.1178:                             ;   in Loop: Header=BB0_7 Depth=1
	s_delay_alu instid0(VALU_DEP_1)
	v_add_nc_u32_e32 v11, 0x580000, v11
; %bb.1179:                             ;   in Loop: Header=BB0_7 Depth=1
	s_or_b32 exec_lo, exec_lo, s90
.LBB0_1180:                             ;   in Loop: Header=BB0_7 Depth=1
	s_and_not1_saveexec_b32 s89, s89
; %bb.1181:                             ;   in Loop: Header=BB0_7 Depth=1
	s_delay_alu instid0(VALU_DEP_1)
	v_add_nc_u32_e32 v11, 0x5c0000, v11
; %bb.1182:                             ;   in Loop: Header=BB0_7 Depth=1
	s_or_b32 exec_lo, exec_lo, s89
.LBB0_1183:                             ;   in Loop: Header=BB0_7 Depth=1
	s_and_not1_saveexec_b32 s88, s88
; %bb.1184:                             ;   in Loop: Header=BB0_7 Depth=1
	s_delay_alu instid0(VALU_DEP_1)
	v_add_nc_u32_e32 v11, 0x600000, v11
; %bb.1185:                             ;   in Loop: Header=BB0_7 Depth=1
	s_or_b32 exec_lo, exec_lo, s88
.LBB0_1186:                             ;   in Loop: Header=BB0_7 Depth=1
	s_and_not1_saveexec_b32 s87, s87
; %bb.1187:                             ;   in Loop: Header=BB0_7 Depth=1
	s_delay_alu instid0(VALU_DEP_1)
	v_add_nc_u32_e32 v11, 0x640000, v11
; %bb.1188:                             ;   in Loop: Header=BB0_7 Depth=1
	s_or_b32 exec_lo, exec_lo, s87
.LBB0_1189:                             ;   in Loop: Header=BB0_7 Depth=1
	s_and_not1_saveexec_b32 s86, s86
; %bb.1190:                             ;   in Loop: Header=BB0_7 Depth=1
	s_delay_alu instid0(VALU_DEP_1)
	v_add_nc_u32_e32 v11, 0x680000, v11
; %bb.1191:                             ;   in Loop: Header=BB0_7 Depth=1
	s_or_b32 exec_lo, exec_lo, s86
.LBB0_1192:                             ;   in Loop: Header=BB0_7 Depth=1
	s_and_not1_saveexec_b32 s85, s85
; %bb.1193:                             ;   in Loop: Header=BB0_7 Depth=1
	s_delay_alu instid0(VALU_DEP_1)
	v_add_nc_u32_e32 v11, 0x6c0000, v11
; %bb.1194:                             ;   in Loop: Header=BB0_7 Depth=1
	s_or_b32 exec_lo, exec_lo, s85
.LBB0_1195:                             ;   in Loop: Header=BB0_7 Depth=1
	s_and_not1_saveexec_b32 s84, s84
; %bb.1196:                             ;   in Loop: Header=BB0_7 Depth=1
	s_delay_alu instid0(VALU_DEP_1)
	v_add_nc_u32_e32 v11, 0x700000, v11
; %bb.1197:                             ;   in Loop: Header=BB0_7 Depth=1
	s_or_b32 exec_lo, exec_lo, s84
.LBB0_1198:                             ;   in Loop: Header=BB0_7 Depth=1
	s_and_not1_saveexec_b32 s83, s83
; %bb.1199:                             ;   in Loop: Header=BB0_7 Depth=1
	s_delay_alu instid0(VALU_DEP_1)
	v_add_nc_u32_e32 v11, 0x740000, v11
; %bb.1200:                             ;   in Loop: Header=BB0_7 Depth=1
	s_or_b32 exec_lo, exec_lo, s83
.LBB0_1201:                             ;   in Loop: Header=BB0_7 Depth=1
	s_and_not1_saveexec_b32 s82, s82
; %bb.1202:                             ;   in Loop: Header=BB0_7 Depth=1
	s_delay_alu instid0(VALU_DEP_1)
	v_add_nc_u32_e32 v11, 0x780000, v11
; %bb.1203:                             ;   in Loop: Header=BB0_7 Depth=1
	s_or_b32 exec_lo, exec_lo, s82
.LBB0_1204:                             ;   in Loop: Header=BB0_7 Depth=1
	s_and_not1_saveexec_b32 s81, s81
; %bb.1205:                             ;   in Loop: Header=BB0_7 Depth=1
	s_delay_alu instid0(VALU_DEP_1)
	v_add_nc_u32_e32 v11, 0x7c0000, v11
; %bb.1206:                             ;   in Loop: Header=BB0_7 Depth=1
	s_or_b32 exec_lo, exec_lo, s81
.LBB0_1207:                             ;   in Loop: Header=BB0_7 Depth=1
	s_delay_alu instid0(SALU_CYCLE_1) | instskip(SKIP_1) | instid1(SALU_CYCLE_1)
	s_or_b32 exec_lo, exec_lo, s63
	s_or_b32 s63, s33, 11
	v_cmp_ge_u32_e32 vcc_lo, s63, v0
	s_and_saveexec_b32 s63, vcc_lo
	s_delay_alu instid0(SALU_CYCLE_1)
	s_xor_b32 s63, exec_lo, s63
; %bb.1208:                             ;   in Loop: Header=BB0_7 Depth=1
	v_add_nc_u32_e32 v11, 0x7c000000, v11
; %bb.1209:                             ;   in Loop: Header=BB0_7 Depth=1
	s_and_not1_saveexec_b32 s63, s63
	s_cbranch_execz .LBB0_1333
; %bb.1210:                             ;   in Loop: Header=BB0_7 Depth=1
	s_add_co_i32 s81, s62, 0
	s_delay_alu instid0(SALU_CYCLE_1)
	v_mov_b32_e32 v1, s81
	s_mov_b32 s81, exec_lo
	ds_load_2addr_b64 v[12:15], v1 offset0:33 offset1:34
	ds_load_b64 v[16:17], v1 offset:280
	s_wait_dscnt 0x1
	v_mul_f64_e32 v[8:9], v[4:5], v[14:15]
	s_delay_alu instid0(VALU_DEP_1) | instskip(SKIP_1) | instid1(VALU_DEP_1)
	v_fmac_f64_e32 v[8:9], v[2:3], v[12:13]
	s_wait_dscnt 0x0
	v_fmac_f64_e32 v[8:9], v[6:7], v[16:17]
	s_delay_alu instid0(VALU_DEP_1)
	v_cmpx_ngt_f64_e32 s[60:61], v[8:9]
	s_xor_b32 s81, exec_lo, s81
	s_cbranch_execz .LBB0_1330
; %bb.1211:                             ;   in Loop: Header=BB0_7 Depth=1
	s_mov_b32 s82, exec_lo
	v_cmpx_ngt_f64_e32 s[66:67], v[8:9]
	s_xor_b32 s82, exec_lo, s82
	s_cbranch_execz .LBB0_1327
; %bb.1212:                             ;   in Loop: Header=BB0_7 Depth=1
	s_mov_b32 s83, exec_lo
	;; [unrolled: 5-line block ×21, first 2 shown]
	v_cmpx_ngt_f64_e32 s[18:19], v[8:9]
	s_xor_b32 s104, exec_lo, s104
	s_cbranch_execz .LBB0_1267
; %bb.1232:                             ;   in Loop: Header=BB0_7 Depth=1
	s_mov_b32 vcc_hi, exec_lo
	v_cmpx_ngt_f64_e32 s[16:17], v[8:9]
	s_xor_b32 vcc_hi, exec_lo, vcc_hi
	s_delay_alu instid0(SALU_CYCLE_1)
	v_writelane_b32 v18, vcc_hi, 0
	s_cbranch_execz .LBB0_1264
; %bb.1233:                             ;   in Loop: Header=BB0_7 Depth=1
	s_mov_b32 vcc_hi, exec_lo
	v_cmpx_ngt_f64_e32 s[50:51], v[8:9]
	s_xor_b32 vcc_hi, exec_lo, vcc_hi
	s_delay_alu instid0(SALU_CYCLE_1)
	v_writelane_b32 v18, vcc_hi, 1
	;; [unrolled: 7-line block ×8, first 2 shown]
	s_cbranch_execz .LBB0_1243
; %bb.1240:                             ;   in Loop: Header=BB0_7 Depth=1
	s_mov_b32 vcc_lo, exec_lo
	v_cmpx_gt_f64_e32 s[36:37], v[8:9]
; %bb.1241:                             ;   in Loop: Header=BB0_7 Depth=1
	v_add_nc_u32_e32 v11, 0x4000000, v11
; %bb.1242:                             ;   in Loop: Header=BB0_7 Depth=1
	s_or_b32 exec_lo, exec_lo, vcc_lo
.LBB0_1243:                             ;   in Loop: Header=BB0_7 Depth=1
	s_delay_alu instid0(VALU_DEP_1)
	v_readlane_b32 vcc_lo, v18, 8
	s_and_not1_saveexec_b32 vcc_lo, vcc_lo
; %bb.1244:                             ;   in Loop: Header=BB0_7 Depth=1
	v_add_nc_u32_e32 v11, 0x8000000, v11
; %bb.1245:                             ;   in Loop: Header=BB0_7 Depth=1
	s_or_b32 exec_lo, exec_lo, vcc_lo
.LBB0_1246:                             ;   in Loop: Header=BB0_7 Depth=1
	s_delay_alu instid0(VALU_DEP_1)
	v_readlane_b32 vcc_lo, v18, 6
	s_and_not1_saveexec_b32 vcc_lo, vcc_lo
; %bb.1247:                             ;   in Loop: Header=BB0_7 Depth=1
	v_add_nc_u32_e32 v11, 0xc000000, v11
; %bb.1248:                             ;   in Loop: Header=BB0_7 Depth=1
	s_or_b32 exec_lo, exec_lo, vcc_lo
.LBB0_1249:                             ;   in Loop: Header=BB0_7 Depth=1
	s_delay_alu instid0(VALU_DEP_1)
	v_readlane_b32 vcc_lo, v18, 5
	s_and_not1_saveexec_b32 vcc_lo, vcc_lo
; %bb.1250:                             ;   in Loop: Header=BB0_7 Depth=1
	v_add_nc_u32_e32 v11, 0x10000000, v11
; %bb.1251:                             ;   in Loop: Header=BB0_7 Depth=1
	s_or_b32 exec_lo, exec_lo, vcc_lo
.LBB0_1252:                             ;   in Loop: Header=BB0_7 Depth=1
	s_delay_alu instid0(VALU_DEP_1)
	v_readlane_b32 vcc_lo, v18, 4
	s_and_not1_saveexec_b32 vcc_lo, vcc_lo
; %bb.1253:                             ;   in Loop: Header=BB0_7 Depth=1
	v_add_nc_u32_e32 v11, 0x14000000, v11
; %bb.1254:                             ;   in Loop: Header=BB0_7 Depth=1
	s_or_b32 exec_lo, exec_lo, vcc_lo
.LBB0_1255:                             ;   in Loop: Header=BB0_7 Depth=1
	s_delay_alu instid0(VALU_DEP_1)
	v_readlane_b32 vcc_lo, v18, 3
	s_and_not1_saveexec_b32 vcc_lo, vcc_lo
; %bb.1256:                             ;   in Loop: Header=BB0_7 Depth=1
	v_add_nc_u32_e32 v11, 0x18000000, v11
; %bb.1257:                             ;   in Loop: Header=BB0_7 Depth=1
	s_or_b32 exec_lo, exec_lo, vcc_lo
.LBB0_1258:                             ;   in Loop: Header=BB0_7 Depth=1
	s_delay_alu instid0(VALU_DEP_1)
	v_readlane_b32 vcc_lo, v18, 2
	s_and_not1_saveexec_b32 vcc_lo, vcc_lo
; %bb.1259:                             ;   in Loop: Header=BB0_7 Depth=1
	v_add_nc_u32_e32 v11, 0x1c000000, v11
; %bb.1260:                             ;   in Loop: Header=BB0_7 Depth=1
	s_or_b32 exec_lo, exec_lo, vcc_lo
.LBB0_1261:                             ;   in Loop: Header=BB0_7 Depth=1
	s_delay_alu instid0(VALU_DEP_1)
	v_readlane_b32 vcc_lo, v18, 1
	s_and_not1_saveexec_b32 vcc_lo, vcc_lo
; %bb.1262:                             ;   in Loop: Header=BB0_7 Depth=1
	v_add_nc_u32_e32 v11, 0x20000000, v11
; %bb.1263:                             ;   in Loop: Header=BB0_7 Depth=1
	s_or_b32 exec_lo, exec_lo, vcc_lo
.LBB0_1264:                             ;   in Loop: Header=BB0_7 Depth=1
	s_delay_alu instid0(VALU_DEP_1)
	v_readlane_b32 vcc_lo, v18, 0
	s_and_not1_saveexec_b32 vcc_lo, vcc_lo
; %bb.1265:                             ;   in Loop: Header=BB0_7 Depth=1
	v_add_nc_u32_e32 v11, 0x24000000, v11
; %bb.1266:                             ;   in Loop: Header=BB0_7 Depth=1
	s_or_b32 exec_lo, exec_lo, vcc_lo
.LBB0_1267:                             ;   in Loop: Header=BB0_7 Depth=1
	s_and_not1_saveexec_b32 s104, s104
; %bb.1268:                             ;   in Loop: Header=BB0_7 Depth=1
	s_delay_alu instid0(VALU_DEP_1)
	v_add_nc_u32_e32 v11, 0x28000000, v11
; %bb.1269:                             ;   in Loop: Header=BB0_7 Depth=1
	s_or_b32 exec_lo, exec_lo, s104
.LBB0_1270:                             ;   in Loop: Header=BB0_7 Depth=1
	s_and_not1_saveexec_b32 s101, s101
; %bb.1271:                             ;   in Loop: Header=BB0_7 Depth=1
	s_delay_alu instid0(VALU_DEP_1)
	v_add_nc_u32_e32 v11, 0x2c000000, v11
; %bb.1272:                             ;   in Loop: Header=BB0_7 Depth=1
	s_or_b32 exec_lo, exec_lo, s101
.LBB0_1273:                             ;   in Loop: Header=BB0_7 Depth=1
	s_and_not1_saveexec_b32 s100, s100
; %bb.1274:                             ;   in Loop: Header=BB0_7 Depth=1
	s_delay_alu instid0(VALU_DEP_1)
	v_add_nc_u32_e32 v11, 0x30000000, v11
; %bb.1275:                             ;   in Loop: Header=BB0_7 Depth=1
	s_or_b32 exec_lo, exec_lo, s100
.LBB0_1276:                             ;   in Loop: Header=BB0_7 Depth=1
	s_and_not1_saveexec_b32 s99, s99
; %bb.1277:                             ;   in Loop: Header=BB0_7 Depth=1
	s_delay_alu instid0(VALU_DEP_1)
	v_add_nc_u32_e32 v11, 0x34000000, v11
; %bb.1278:                             ;   in Loop: Header=BB0_7 Depth=1
	s_or_b32 exec_lo, exec_lo, s99
.LBB0_1279:                             ;   in Loop: Header=BB0_7 Depth=1
	s_and_not1_saveexec_b32 s98, s98
; %bb.1280:                             ;   in Loop: Header=BB0_7 Depth=1
	s_delay_alu instid0(VALU_DEP_1)
	v_add_nc_u32_e32 v11, 0x38000000, v11
; %bb.1281:                             ;   in Loop: Header=BB0_7 Depth=1
	s_or_b32 exec_lo, exec_lo, s98
.LBB0_1282:                             ;   in Loop: Header=BB0_7 Depth=1
	s_and_not1_saveexec_b32 s97, s97
; %bb.1283:                             ;   in Loop: Header=BB0_7 Depth=1
	s_delay_alu instid0(VALU_DEP_1)
	v_add_nc_u32_e32 v11, 0x3c000000, v11
; %bb.1284:                             ;   in Loop: Header=BB0_7 Depth=1
	s_or_b32 exec_lo, exec_lo, s97
.LBB0_1285:                             ;   in Loop: Header=BB0_7 Depth=1
	s_and_not1_saveexec_b32 s96, s96
; %bb.1286:                             ;   in Loop: Header=BB0_7 Depth=1
	s_delay_alu instid0(VALU_DEP_1)
	v_add_nc_u32_e32 v11, 2.0, v11
; %bb.1287:                             ;   in Loop: Header=BB0_7 Depth=1
	s_or_b32 exec_lo, exec_lo, s96
.LBB0_1288:                             ;   in Loop: Header=BB0_7 Depth=1
	s_and_not1_saveexec_b32 s95, s95
; %bb.1289:                             ;   in Loop: Header=BB0_7 Depth=1
	s_delay_alu instid0(VALU_DEP_1)
	v_add_nc_u32_e32 v11, 0x44000000, v11
; %bb.1290:                             ;   in Loop: Header=BB0_7 Depth=1
	s_or_b32 exec_lo, exec_lo, s95
.LBB0_1291:                             ;   in Loop: Header=BB0_7 Depth=1
	s_and_not1_saveexec_b32 s94, s94
; %bb.1292:                             ;   in Loop: Header=BB0_7 Depth=1
	s_delay_alu instid0(VALU_DEP_1)
	v_add_nc_u32_e32 v11, 0x48000000, v11
; %bb.1293:                             ;   in Loop: Header=BB0_7 Depth=1
	s_or_b32 exec_lo, exec_lo, s94
.LBB0_1294:                             ;   in Loop: Header=BB0_7 Depth=1
	s_and_not1_saveexec_b32 s93, s93
; %bb.1295:                             ;   in Loop: Header=BB0_7 Depth=1
	s_delay_alu instid0(VALU_DEP_1)
	v_add_nc_u32_e32 v11, 0x4c000000, v11
; %bb.1296:                             ;   in Loop: Header=BB0_7 Depth=1
	s_or_b32 exec_lo, exec_lo, s93
.LBB0_1297:                             ;   in Loop: Header=BB0_7 Depth=1
	s_and_not1_saveexec_b32 s92, s92
; %bb.1298:                             ;   in Loop: Header=BB0_7 Depth=1
	s_delay_alu instid0(VALU_DEP_1)
	v_add_nc_u32_e32 v11, 0x50000000, v11
; %bb.1299:                             ;   in Loop: Header=BB0_7 Depth=1
	s_or_b32 exec_lo, exec_lo, s92
.LBB0_1300:                             ;   in Loop: Header=BB0_7 Depth=1
	s_and_not1_saveexec_b32 s91, s91
; %bb.1301:                             ;   in Loop: Header=BB0_7 Depth=1
	s_delay_alu instid0(VALU_DEP_1)
	v_add_nc_u32_e32 v11, 0x54000000, v11
; %bb.1302:                             ;   in Loop: Header=BB0_7 Depth=1
	s_or_b32 exec_lo, exec_lo, s91
.LBB0_1303:                             ;   in Loop: Header=BB0_7 Depth=1
	s_and_not1_saveexec_b32 s90, s90
; %bb.1304:                             ;   in Loop: Header=BB0_7 Depth=1
	s_delay_alu instid0(VALU_DEP_1)
	v_add_nc_u32_e32 v11, 0x58000000, v11
; %bb.1305:                             ;   in Loop: Header=BB0_7 Depth=1
	s_or_b32 exec_lo, exec_lo, s90
.LBB0_1306:                             ;   in Loop: Header=BB0_7 Depth=1
	s_and_not1_saveexec_b32 s89, s89
; %bb.1307:                             ;   in Loop: Header=BB0_7 Depth=1
	s_delay_alu instid0(VALU_DEP_1)
	v_add_nc_u32_e32 v11, 0x5c000000, v11
; %bb.1308:                             ;   in Loop: Header=BB0_7 Depth=1
	s_or_b32 exec_lo, exec_lo, s89
.LBB0_1309:                             ;   in Loop: Header=BB0_7 Depth=1
	s_and_not1_saveexec_b32 s88, s88
; %bb.1310:                             ;   in Loop: Header=BB0_7 Depth=1
	s_delay_alu instid0(VALU_DEP_1)
	v_add_nc_u32_e32 v11, 0x60000000, v11
; %bb.1311:                             ;   in Loop: Header=BB0_7 Depth=1
	s_or_b32 exec_lo, exec_lo, s88
.LBB0_1312:                             ;   in Loop: Header=BB0_7 Depth=1
	s_and_not1_saveexec_b32 s87, s87
; %bb.1313:                             ;   in Loop: Header=BB0_7 Depth=1
	s_delay_alu instid0(VALU_DEP_1)
	v_add_nc_u32_e32 v11, 0x64000000, v11
; %bb.1314:                             ;   in Loop: Header=BB0_7 Depth=1
	s_or_b32 exec_lo, exec_lo, s87
.LBB0_1315:                             ;   in Loop: Header=BB0_7 Depth=1
	s_and_not1_saveexec_b32 s86, s86
; %bb.1316:                             ;   in Loop: Header=BB0_7 Depth=1
	s_delay_alu instid0(VALU_DEP_1)
	v_add_nc_u32_e32 v11, 0x68000000, v11
; %bb.1317:                             ;   in Loop: Header=BB0_7 Depth=1
	s_or_b32 exec_lo, exec_lo, s86
.LBB0_1318:                             ;   in Loop: Header=BB0_7 Depth=1
	s_and_not1_saveexec_b32 s85, s85
; %bb.1319:                             ;   in Loop: Header=BB0_7 Depth=1
	s_delay_alu instid0(VALU_DEP_1)
	v_add_nc_u32_e32 v11, 0x6c000000, v11
; %bb.1320:                             ;   in Loop: Header=BB0_7 Depth=1
	s_or_b32 exec_lo, exec_lo, s85
.LBB0_1321:                             ;   in Loop: Header=BB0_7 Depth=1
	s_and_not1_saveexec_b32 s84, s84
; %bb.1322:                             ;   in Loop: Header=BB0_7 Depth=1
	s_delay_alu instid0(VALU_DEP_1)
	v_add_nc_u32_e32 v11, 0x70000000, v11
; %bb.1323:                             ;   in Loop: Header=BB0_7 Depth=1
	s_or_b32 exec_lo, exec_lo, s84
.LBB0_1324:                             ;   in Loop: Header=BB0_7 Depth=1
	s_and_not1_saveexec_b32 s83, s83
; %bb.1325:                             ;   in Loop: Header=BB0_7 Depth=1
	s_delay_alu instid0(VALU_DEP_1)
	v_add_nc_u32_e32 v11, 0x74000000, v11
; %bb.1326:                             ;   in Loop: Header=BB0_7 Depth=1
	s_or_b32 exec_lo, exec_lo, s83
.LBB0_1327:                             ;   in Loop: Header=BB0_7 Depth=1
	s_and_not1_saveexec_b32 s82, s82
; %bb.1328:                             ;   in Loop: Header=BB0_7 Depth=1
	s_delay_alu instid0(VALU_DEP_1)
	v_add_nc_u32_e32 v11, 0x78000000, v11
; %bb.1329:                             ;   in Loop: Header=BB0_7 Depth=1
	s_or_b32 exec_lo, exec_lo, s82
.LBB0_1330:                             ;   in Loop: Header=BB0_7 Depth=1
	s_and_not1_saveexec_b32 s81, s81
; %bb.1331:                             ;   in Loop: Header=BB0_7 Depth=1
	s_delay_alu instid0(VALU_DEP_1)
	v_add_nc_u32_e32 v11, 0x7c000000, v11
; %bb.1332:                             ;   in Loop: Header=BB0_7 Depth=1
	s_or_b32 exec_lo, exec_lo, s81
.LBB0_1333:                             ;   in Loop: Header=BB0_7 Depth=1
	s_delay_alu instid0(SALU_CYCLE_1)
	s_or_b32 exec_lo, exec_lo, s63
	v_lshl_add_u32 v8, s80, 12, v10
	v_mov_b32_e32 v1, 0x7c
	s_or_b32 s63, s33, 12
	s_mov_b32 s80, exec_lo
	global_store_b32 v8, v11, s[34:35] scale_offset
	s_wait_xcnt 0x0
	v_cmpx_lt_u32_e64 s63, v0
	s_cbranch_execz .LBB0_1397
; %bb.1334:                             ;   in Loop: Header=BB0_7 Depth=1
	s_add_co_i32 s81, s62, 0
	s_delay_alu instid0(SALU_CYCLE_1)
	v_mov_b32_e32 v1, s81
	s_mov_b32 s81, exec_lo
	ds_load_2addr_b64 v[12:15], v1 offset0:36 offset1:37
	ds_load_b64 v[16:17], v1 offset:304
	v_mov_b32_e32 v1, 0x7c
	s_wait_dscnt 0x1
	v_mul_f64_e32 v[8:9], v[4:5], v[14:15]
	s_delay_alu instid0(VALU_DEP_1) | instskip(SKIP_1) | instid1(VALU_DEP_1)
	v_fmac_f64_e32 v[8:9], v[2:3], v[12:13]
	s_wait_dscnt 0x0
	v_fmac_f64_e32 v[8:9], v[6:7], v[16:17]
	s_delay_alu instid0(VALU_DEP_1)
	v_cmpx_ngt_f64_e32 s[60:61], v[8:9]
	s_cbranch_execz .LBB0_1396
; %bb.1335:                             ;   in Loop: Header=BB0_7 Depth=1
	v_mov_b32_e32 v1, 0x78
	s_mov_b32 s82, exec_lo
	v_cmpx_ngt_f64_e32 s[66:67], v[8:9]
	s_cbranch_execz .LBB0_1395
; %bb.1336:                             ;   in Loop: Header=BB0_7 Depth=1
	v_mov_b32_e32 v1, 0x74
	s_mov_b32 s83, exec_lo
	;; [unrolled: 5-line block ×21, first 2 shown]
	v_cmpx_ngt_f64_e32 s[18:19], v[8:9]
	s_cbranch_execz .LBB0_1375
; %bb.1356:                             ;   in Loop: Header=BB0_7 Depth=1
	v_mov_b32_e32 v1, 36
	v_cmp_ngt_f64_e32 vcc_lo, s[16:17], v[8:9]
	s_mov_b32 vcc_hi, exec_lo
	s_delay_alu instid0(SALU_CYCLE_1)
	s_and_b32 vcc_lo, vcc_hi, vcc_lo
	v_writelane_b32 v18, vcc_hi, 0
	s_mov_b32 exec_lo, vcc_lo
	s_cbranch_execz .LBB0_1374
; %bb.1357:                             ;   in Loop: Header=BB0_7 Depth=1
	v_mov_b32_e32 v1, 32
	v_cmp_ngt_f64_e32 vcc_lo, s[50:51], v[8:9]
	s_mov_b32 vcc_hi, exec_lo
	s_delay_alu instid0(SALU_CYCLE_1)
	s_and_b32 vcc_lo, vcc_hi, vcc_lo
	v_writelane_b32 v18, vcc_hi, 1
	s_mov_b32 exec_lo, vcc_lo
	;; [unrolled: 9-line block ×8, first 2 shown]
	s_cbranch_execz .LBB0_1367
; %bb.1364:                             ;   in Loop: Header=BB0_7 Depth=1
	v_mov_b32_e32 v1, 0
	s_mov_b32 vcc_hi, exec_lo
	v_cmpx_gt_f64_e32 s[36:37], v[8:9]
; %bb.1365:                             ;   in Loop: Header=BB0_7 Depth=1
	v_mov_b32_e32 v1, 4
; %bb.1366:                             ;   in Loop: Header=BB0_7 Depth=1
	s_or_b32 exec_lo, exec_lo, vcc_hi
.LBB0_1367:                             ;   in Loop: Header=BB0_7 Depth=1
	s_delay_alu instid0(VALU_DEP_1)
	v_readlane_b32 vcc_lo, v18, 8
	s_or_b32 exec_lo, exec_lo, vcc_lo
.LBB0_1368:                             ;   in Loop: Header=BB0_7 Depth=1
	s_delay_alu instid0(VALU_DEP_1)
	v_readlane_b32 vcc_lo, v18, 6
	s_or_b32 exec_lo, exec_lo, vcc_lo
.LBB0_1369:                             ;   in Loop: Header=BB0_7 Depth=1
	s_delay_alu instid0(VALU_DEP_1)
	v_readlane_b32 vcc_lo, v18, 5
	s_or_b32 exec_lo, exec_lo, vcc_lo
.LBB0_1370:                             ;   in Loop: Header=BB0_7 Depth=1
	s_delay_alu instid0(VALU_DEP_1)
	v_readlane_b32 vcc_lo, v18, 4
	s_or_b32 exec_lo, exec_lo, vcc_lo
.LBB0_1371:                             ;   in Loop: Header=BB0_7 Depth=1
	s_delay_alu instid0(VALU_DEP_1)
	v_readlane_b32 vcc_lo, v18, 3
	s_or_b32 exec_lo, exec_lo, vcc_lo
.LBB0_1372:                             ;   in Loop: Header=BB0_7 Depth=1
	s_delay_alu instid0(VALU_DEP_1)
	v_readlane_b32 vcc_lo, v18, 2
	s_or_b32 exec_lo, exec_lo, vcc_lo
.LBB0_1373:                             ;   in Loop: Header=BB0_7 Depth=1
	s_delay_alu instid0(VALU_DEP_1)
	v_readlane_b32 vcc_lo, v18, 1
	s_or_b32 exec_lo, exec_lo, vcc_lo
.LBB0_1374:                             ;   in Loop: Header=BB0_7 Depth=1
	s_delay_alu instid0(VALU_DEP_1)
	v_readlane_b32 vcc_lo, v18, 0
	s_or_b32 exec_lo, exec_lo, vcc_lo
.LBB0_1375:                             ;   in Loop: Header=BB0_7 Depth=1
	s_delay_alu instid0(SALU_CYCLE_1)
	s_or_b32 exec_lo, exec_lo, s104
.LBB0_1376:                             ;   in Loop: Header=BB0_7 Depth=1
	s_delay_alu instid0(SALU_CYCLE_1)
	s_or_b32 exec_lo, exec_lo, s101
.LBB0_1377:                             ;   in Loop: Header=BB0_7 Depth=1
	s_delay_alu instid0(SALU_CYCLE_1)
	s_or_b32 exec_lo, exec_lo, s100
.LBB0_1378:                             ;   in Loop: Header=BB0_7 Depth=1
	s_delay_alu instid0(SALU_CYCLE_1)
	s_or_b32 exec_lo, exec_lo, s99
.LBB0_1379:                             ;   in Loop: Header=BB0_7 Depth=1
	s_delay_alu instid0(SALU_CYCLE_1)
	s_or_b32 exec_lo, exec_lo, s98
.LBB0_1380:                             ;   in Loop: Header=BB0_7 Depth=1
	s_delay_alu instid0(SALU_CYCLE_1)
	s_or_b32 exec_lo, exec_lo, s97
.LBB0_1381:                             ;   in Loop: Header=BB0_7 Depth=1
	s_delay_alu instid0(SALU_CYCLE_1)
	s_or_b32 exec_lo, exec_lo, s96
.LBB0_1382:                             ;   in Loop: Header=BB0_7 Depth=1
	s_delay_alu instid0(SALU_CYCLE_1)
	s_or_b32 exec_lo, exec_lo, s95
.LBB0_1383:                             ;   in Loop: Header=BB0_7 Depth=1
	s_delay_alu instid0(SALU_CYCLE_1)
	s_or_b32 exec_lo, exec_lo, s94
.LBB0_1384:                             ;   in Loop: Header=BB0_7 Depth=1
	s_delay_alu instid0(SALU_CYCLE_1)
	s_or_b32 exec_lo, exec_lo, s93
.LBB0_1385:                             ;   in Loop: Header=BB0_7 Depth=1
	s_delay_alu instid0(SALU_CYCLE_1)
	s_or_b32 exec_lo, exec_lo, s92
.LBB0_1386:                             ;   in Loop: Header=BB0_7 Depth=1
	s_delay_alu instid0(SALU_CYCLE_1)
	s_or_b32 exec_lo, exec_lo, s91
.LBB0_1387:                             ;   in Loop: Header=BB0_7 Depth=1
	s_delay_alu instid0(SALU_CYCLE_1)
	s_or_b32 exec_lo, exec_lo, s90
.LBB0_1388:                             ;   in Loop: Header=BB0_7 Depth=1
	s_delay_alu instid0(SALU_CYCLE_1)
	s_or_b32 exec_lo, exec_lo, s89
.LBB0_1389:                             ;   in Loop: Header=BB0_7 Depth=1
	s_delay_alu instid0(SALU_CYCLE_1)
	s_or_b32 exec_lo, exec_lo, s88
.LBB0_1390:                             ;   in Loop: Header=BB0_7 Depth=1
	s_delay_alu instid0(SALU_CYCLE_1)
	s_or_b32 exec_lo, exec_lo, s87
.LBB0_1391:                             ;   in Loop: Header=BB0_7 Depth=1
	s_delay_alu instid0(SALU_CYCLE_1)
	s_or_b32 exec_lo, exec_lo, s86
.LBB0_1392:                             ;   in Loop: Header=BB0_7 Depth=1
	s_delay_alu instid0(SALU_CYCLE_1)
	s_or_b32 exec_lo, exec_lo, s85
.LBB0_1393:                             ;   in Loop: Header=BB0_7 Depth=1
	s_delay_alu instid0(SALU_CYCLE_1)
	s_or_b32 exec_lo, exec_lo, s84
.LBB0_1394:                             ;   in Loop: Header=BB0_7 Depth=1
	s_delay_alu instid0(SALU_CYCLE_1)
	s_or_b32 exec_lo, exec_lo, s83
.LBB0_1395:                             ;   in Loop: Header=BB0_7 Depth=1
	s_delay_alu instid0(SALU_CYCLE_1)
	s_or_b32 exec_lo, exec_lo, s82
.LBB0_1396:                             ;   in Loop: Header=BB0_7 Depth=1
	s_delay_alu instid0(SALU_CYCLE_1)
	s_or_b32 exec_lo, exec_lo, s81
.LBB0_1397:                             ;   in Loop: Header=BB0_7 Depth=1
	s_delay_alu instid0(SALU_CYCLE_1) | instskip(SKIP_1) | instid1(SALU_CYCLE_1)
	s_or_b32 exec_lo, exec_lo, s80
	s_or_b32 s80, s33, 13
	v_cmp_ge_u32_e32 vcc_lo, s80, v0
	s_and_saveexec_b32 s80, vcc_lo
	s_delay_alu instid0(SALU_CYCLE_1)
	s_xor_b32 s80, exec_lo, s80
; %bb.1398:                             ;   in Loop: Header=BB0_7 Depth=1
	v_or_b32_e32 v1, 0x7c00, v1
; %bb.1399:                             ;   in Loop: Header=BB0_7 Depth=1
	s_and_not1_saveexec_b32 s80, s80
	s_cbranch_execz .LBB0_1523
; %bb.1400:                             ;   in Loop: Header=BB0_7 Depth=1
	s_add_co_i32 s81, s62, 0
	s_delay_alu instid0(SALU_CYCLE_1)
	v_mov_b32_e32 v8, s81
	s_mov_b32 s81, exec_lo
	ds_load_2addr_b64 v[12:15], v8 offset0:39 offset1:40
	ds_load_b64 v[16:17], v8 offset:328
	s_wait_dscnt 0x1
	v_mul_f64_e32 v[8:9], v[4:5], v[14:15]
	s_delay_alu instid0(VALU_DEP_1) | instskip(SKIP_1) | instid1(VALU_DEP_1)
	v_fmac_f64_e32 v[8:9], v[2:3], v[12:13]
	s_wait_dscnt 0x0
	v_fmac_f64_e32 v[8:9], v[6:7], v[16:17]
	s_delay_alu instid0(VALU_DEP_1)
	v_cmpx_ngt_f64_e32 s[60:61], v[8:9]
	s_xor_b32 s81, exec_lo, s81
	s_cbranch_execz .LBB0_1520
; %bb.1401:                             ;   in Loop: Header=BB0_7 Depth=1
	s_mov_b32 s82, exec_lo
	v_cmpx_ngt_f64_e32 s[66:67], v[8:9]
	s_xor_b32 s82, exec_lo, s82
	s_cbranch_execz .LBB0_1517
; %bb.1402:                             ;   in Loop: Header=BB0_7 Depth=1
	s_mov_b32 s83, exec_lo
	;; [unrolled: 5-line block ×21, first 2 shown]
	v_cmpx_ngt_f64_e32 s[18:19], v[8:9]
	s_xor_b32 s104, exec_lo, s104
	s_cbranch_execz .LBB0_1457
; %bb.1422:                             ;   in Loop: Header=BB0_7 Depth=1
	s_mov_b32 vcc_hi, exec_lo
	v_cmpx_ngt_f64_e32 s[16:17], v[8:9]
	s_xor_b32 vcc_hi, exec_lo, vcc_hi
	s_delay_alu instid0(SALU_CYCLE_1)
	v_writelane_b32 v18, vcc_hi, 0
	s_cbranch_execz .LBB0_1454
; %bb.1423:                             ;   in Loop: Header=BB0_7 Depth=1
	s_mov_b32 vcc_hi, exec_lo
	v_cmpx_ngt_f64_e32 s[50:51], v[8:9]
	s_xor_b32 vcc_hi, exec_lo, vcc_hi
	s_delay_alu instid0(SALU_CYCLE_1)
	v_writelane_b32 v18, vcc_hi, 1
	;; [unrolled: 7-line block ×8, first 2 shown]
	s_cbranch_execz .LBB0_1433
; %bb.1430:                             ;   in Loop: Header=BB0_7 Depth=1
	s_mov_b32 vcc_lo, exec_lo
	v_cmpx_gt_f64_e32 s[36:37], v[8:9]
; %bb.1431:                             ;   in Loop: Header=BB0_7 Depth=1
	v_or_b32_e32 v1, 0x400, v1
; %bb.1432:                             ;   in Loop: Header=BB0_7 Depth=1
	s_or_b32 exec_lo, exec_lo, vcc_lo
.LBB0_1433:                             ;   in Loop: Header=BB0_7 Depth=1
	s_delay_alu instid0(VALU_DEP_1)
	v_readlane_b32 vcc_lo, v18, 8
	s_and_not1_saveexec_b32 vcc_lo, vcc_lo
; %bb.1434:                             ;   in Loop: Header=BB0_7 Depth=1
	v_or_b32_e32 v1, 0x800, v1
; %bb.1435:                             ;   in Loop: Header=BB0_7 Depth=1
	s_or_b32 exec_lo, exec_lo, vcc_lo
.LBB0_1436:                             ;   in Loop: Header=BB0_7 Depth=1
	s_delay_alu instid0(VALU_DEP_1)
	v_readlane_b32 vcc_lo, v18, 6
	s_and_not1_saveexec_b32 vcc_lo, vcc_lo
; %bb.1437:                             ;   in Loop: Header=BB0_7 Depth=1
	v_or_b32_e32 v1, 0xc00, v1
; %bb.1438:                             ;   in Loop: Header=BB0_7 Depth=1
	s_or_b32 exec_lo, exec_lo, vcc_lo
.LBB0_1439:                             ;   in Loop: Header=BB0_7 Depth=1
	s_delay_alu instid0(VALU_DEP_1)
	v_readlane_b32 vcc_lo, v18, 5
	s_and_not1_saveexec_b32 vcc_lo, vcc_lo
; %bb.1440:                             ;   in Loop: Header=BB0_7 Depth=1
	v_or_b32_e32 v1, 0x1000, v1
; %bb.1441:                             ;   in Loop: Header=BB0_7 Depth=1
	s_or_b32 exec_lo, exec_lo, vcc_lo
.LBB0_1442:                             ;   in Loop: Header=BB0_7 Depth=1
	s_delay_alu instid0(VALU_DEP_1)
	v_readlane_b32 vcc_lo, v18, 4
	s_and_not1_saveexec_b32 vcc_lo, vcc_lo
; %bb.1443:                             ;   in Loop: Header=BB0_7 Depth=1
	v_or_b32_e32 v1, 0x1400, v1
; %bb.1444:                             ;   in Loop: Header=BB0_7 Depth=1
	s_or_b32 exec_lo, exec_lo, vcc_lo
.LBB0_1445:                             ;   in Loop: Header=BB0_7 Depth=1
	s_delay_alu instid0(VALU_DEP_1)
	v_readlane_b32 vcc_lo, v18, 3
	s_and_not1_saveexec_b32 vcc_lo, vcc_lo
; %bb.1446:                             ;   in Loop: Header=BB0_7 Depth=1
	v_or_b32_e32 v1, 0x1800, v1
; %bb.1447:                             ;   in Loop: Header=BB0_7 Depth=1
	s_or_b32 exec_lo, exec_lo, vcc_lo
.LBB0_1448:                             ;   in Loop: Header=BB0_7 Depth=1
	s_delay_alu instid0(VALU_DEP_1)
	v_readlane_b32 vcc_lo, v18, 2
	s_and_not1_saveexec_b32 vcc_lo, vcc_lo
; %bb.1449:                             ;   in Loop: Header=BB0_7 Depth=1
	v_or_b32_e32 v1, 0x1c00, v1
; %bb.1450:                             ;   in Loop: Header=BB0_7 Depth=1
	s_or_b32 exec_lo, exec_lo, vcc_lo
.LBB0_1451:                             ;   in Loop: Header=BB0_7 Depth=1
	s_delay_alu instid0(VALU_DEP_1)
	v_readlane_b32 vcc_lo, v18, 1
	s_and_not1_saveexec_b32 vcc_lo, vcc_lo
; %bb.1452:                             ;   in Loop: Header=BB0_7 Depth=1
	v_or_b32_e32 v1, 0x2000, v1
; %bb.1453:                             ;   in Loop: Header=BB0_7 Depth=1
	s_or_b32 exec_lo, exec_lo, vcc_lo
.LBB0_1454:                             ;   in Loop: Header=BB0_7 Depth=1
	s_delay_alu instid0(VALU_DEP_1)
	v_readlane_b32 vcc_lo, v18, 0
	s_and_not1_saveexec_b32 vcc_lo, vcc_lo
; %bb.1455:                             ;   in Loop: Header=BB0_7 Depth=1
	v_or_b32_e32 v1, 0x2400, v1
; %bb.1456:                             ;   in Loop: Header=BB0_7 Depth=1
	s_or_b32 exec_lo, exec_lo, vcc_lo
.LBB0_1457:                             ;   in Loop: Header=BB0_7 Depth=1
	s_and_not1_saveexec_b32 s104, s104
; %bb.1458:                             ;   in Loop: Header=BB0_7 Depth=1
	s_delay_alu instid0(VALU_DEP_1)
	v_or_b32_e32 v1, 0x2800, v1
; %bb.1459:                             ;   in Loop: Header=BB0_7 Depth=1
	s_or_b32 exec_lo, exec_lo, s104
.LBB0_1460:                             ;   in Loop: Header=BB0_7 Depth=1
	s_and_not1_saveexec_b32 s101, s101
; %bb.1461:                             ;   in Loop: Header=BB0_7 Depth=1
	s_delay_alu instid0(VALU_DEP_1)
	v_or_b32_e32 v1, 0x2c00, v1
; %bb.1462:                             ;   in Loop: Header=BB0_7 Depth=1
	s_or_b32 exec_lo, exec_lo, s101
.LBB0_1463:                             ;   in Loop: Header=BB0_7 Depth=1
	s_and_not1_saveexec_b32 s100, s100
; %bb.1464:                             ;   in Loop: Header=BB0_7 Depth=1
	s_delay_alu instid0(VALU_DEP_1)
	v_or_b32_e32 v1, 0x3000, v1
; %bb.1465:                             ;   in Loop: Header=BB0_7 Depth=1
	s_or_b32 exec_lo, exec_lo, s100
.LBB0_1466:                             ;   in Loop: Header=BB0_7 Depth=1
	s_and_not1_saveexec_b32 s99, s99
; %bb.1467:                             ;   in Loop: Header=BB0_7 Depth=1
	s_delay_alu instid0(VALU_DEP_1)
	v_or_b32_e32 v1, 0x3400, v1
; %bb.1468:                             ;   in Loop: Header=BB0_7 Depth=1
	s_or_b32 exec_lo, exec_lo, s99
.LBB0_1469:                             ;   in Loop: Header=BB0_7 Depth=1
	s_and_not1_saveexec_b32 s98, s98
; %bb.1470:                             ;   in Loop: Header=BB0_7 Depth=1
	s_delay_alu instid0(VALU_DEP_1)
	v_or_b32_e32 v1, 0x3800, v1
; %bb.1471:                             ;   in Loop: Header=BB0_7 Depth=1
	s_or_b32 exec_lo, exec_lo, s98
.LBB0_1472:                             ;   in Loop: Header=BB0_7 Depth=1
	s_and_not1_saveexec_b32 s97, s97
; %bb.1473:                             ;   in Loop: Header=BB0_7 Depth=1
	s_delay_alu instid0(VALU_DEP_1)
	v_or_b32_e32 v1, 0x3c00, v1
; %bb.1474:                             ;   in Loop: Header=BB0_7 Depth=1
	s_or_b32 exec_lo, exec_lo, s97
.LBB0_1475:                             ;   in Loop: Header=BB0_7 Depth=1
	s_and_not1_saveexec_b32 s96, s96
; %bb.1476:                             ;   in Loop: Header=BB0_7 Depth=1
	s_delay_alu instid0(VALU_DEP_1)
	v_or_b32_e32 v1, 0x4000, v1
; %bb.1477:                             ;   in Loop: Header=BB0_7 Depth=1
	s_or_b32 exec_lo, exec_lo, s96
.LBB0_1478:                             ;   in Loop: Header=BB0_7 Depth=1
	s_and_not1_saveexec_b32 s95, s95
; %bb.1479:                             ;   in Loop: Header=BB0_7 Depth=1
	s_delay_alu instid0(VALU_DEP_1)
	v_or_b32_e32 v1, 0x4400, v1
; %bb.1480:                             ;   in Loop: Header=BB0_7 Depth=1
	s_or_b32 exec_lo, exec_lo, s95
.LBB0_1481:                             ;   in Loop: Header=BB0_7 Depth=1
	s_and_not1_saveexec_b32 s94, s94
; %bb.1482:                             ;   in Loop: Header=BB0_7 Depth=1
	s_delay_alu instid0(VALU_DEP_1)
	v_or_b32_e32 v1, 0x4800, v1
; %bb.1483:                             ;   in Loop: Header=BB0_7 Depth=1
	s_or_b32 exec_lo, exec_lo, s94
.LBB0_1484:                             ;   in Loop: Header=BB0_7 Depth=1
	s_and_not1_saveexec_b32 s93, s93
; %bb.1485:                             ;   in Loop: Header=BB0_7 Depth=1
	s_delay_alu instid0(VALU_DEP_1)
	v_or_b32_e32 v1, 0x4c00, v1
; %bb.1486:                             ;   in Loop: Header=BB0_7 Depth=1
	s_or_b32 exec_lo, exec_lo, s93
.LBB0_1487:                             ;   in Loop: Header=BB0_7 Depth=1
	s_and_not1_saveexec_b32 s92, s92
; %bb.1488:                             ;   in Loop: Header=BB0_7 Depth=1
	s_delay_alu instid0(VALU_DEP_1)
	v_or_b32_e32 v1, 0x5000, v1
; %bb.1489:                             ;   in Loop: Header=BB0_7 Depth=1
	s_or_b32 exec_lo, exec_lo, s92
.LBB0_1490:                             ;   in Loop: Header=BB0_7 Depth=1
	s_and_not1_saveexec_b32 s91, s91
; %bb.1491:                             ;   in Loop: Header=BB0_7 Depth=1
	s_delay_alu instid0(VALU_DEP_1)
	v_or_b32_e32 v1, 0x5400, v1
; %bb.1492:                             ;   in Loop: Header=BB0_7 Depth=1
	s_or_b32 exec_lo, exec_lo, s91
.LBB0_1493:                             ;   in Loop: Header=BB0_7 Depth=1
	s_and_not1_saveexec_b32 s90, s90
; %bb.1494:                             ;   in Loop: Header=BB0_7 Depth=1
	s_delay_alu instid0(VALU_DEP_1)
	v_or_b32_e32 v1, 0x5800, v1
; %bb.1495:                             ;   in Loop: Header=BB0_7 Depth=1
	s_or_b32 exec_lo, exec_lo, s90
.LBB0_1496:                             ;   in Loop: Header=BB0_7 Depth=1
	s_and_not1_saveexec_b32 s89, s89
; %bb.1497:                             ;   in Loop: Header=BB0_7 Depth=1
	s_delay_alu instid0(VALU_DEP_1)
	v_or_b32_e32 v1, 0x5c00, v1
; %bb.1498:                             ;   in Loop: Header=BB0_7 Depth=1
	s_or_b32 exec_lo, exec_lo, s89
.LBB0_1499:                             ;   in Loop: Header=BB0_7 Depth=1
	s_and_not1_saveexec_b32 s88, s88
; %bb.1500:                             ;   in Loop: Header=BB0_7 Depth=1
	s_delay_alu instid0(VALU_DEP_1)
	v_or_b32_e32 v1, 0x6000, v1
; %bb.1501:                             ;   in Loop: Header=BB0_7 Depth=1
	s_or_b32 exec_lo, exec_lo, s88
.LBB0_1502:                             ;   in Loop: Header=BB0_7 Depth=1
	s_and_not1_saveexec_b32 s87, s87
; %bb.1503:                             ;   in Loop: Header=BB0_7 Depth=1
	s_delay_alu instid0(VALU_DEP_1)
	v_or_b32_e32 v1, 0x6400, v1
; %bb.1504:                             ;   in Loop: Header=BB0_7 Depth=1
	s_or_b32 exec_lo, exec_lo, s87
.LBB0_1505:                             ;   in Loop: Header=BB0_7 Depth=1
	s_and_not1_saveexec_b32 s86, s86
; %bb.1506:                             ;   in Loop: Header=BB0_7 Depth=1
	s_delay_alu instid0(VALU_DEP_1)
	v_or_b32_e32 v1, 0x6800, v1
; %bb.1507:                             ;   in Loop: Header=BB0_7 Depth=1
	s_or_b32 exec_lo, exec_lo, s86
.LBB0_1508:                             ;   in Loop: Header=BB0_7 Depth=1
	s_and_not1_saveexec_b32 s85, s85
; %bb.1509:                             ;   in Loop: Header=BB0_7 Depth=1
	s_delay_alu instid0(VALU_DEP_1)
	v_or_b32_e32 v1, 0x6c00, v1
; %bb.1510:                             ;   in Loop: Header=BB0_7 Depth=1
	s_or_b32 exec_lo, exec_lo, s85
.LBB0_1511:                             ;   in Loop: Header=BB0_7 Depth=1
	s_and_not1_saveexec_b32 s84, s84
; %bb.1512:                             ;   in Loop: Header=BB0_7 Depth=1
	s_delay_alu instid0(VALU_DEP_1)
	v_or_b32_e32 v1, 0x7000, v1
; %bb.1513:                             ;   in Loop: Header=BB0_7 Depth=1
	s_or_b32 exec_lo, exec_lo, s84
.LBB0_1514:                             ;   in Loop: Header=BB0_7 Depth=1
	s_and_not1_saveexec_b32 s83, s83
; %bb.1515:                             ;   in Loop: Header=BB0_7 Depth=1
	s_delay_alu instid0(VALU_DEP_1)
	v_or_b32_e32 v1, 0x7400, v1
; %bb.1516:                             ;   in Loop: Header=BB0_7 Depth=1
	s_or_b32 exec_lo, exec_lo, s83
.LBB0_1517:                             ;   in Loop: Header=BB0_7 Depth=1
	s_and_not1_saveexec_b32 s82, s82
; %bb.1518:                             ;   in Loop: Header=BB0_7 Depth=1
	s_delay_alu instid0(VALU_DEP_1)
	v_or_b32_e32 v1, 0x7800, v1
; %bb.1519:                             ;   in Loop: Header=BB0_7 Depth=1
	s_or_b32 exec_lo, exec_lo, s82
.LBB0_1520:                             ;   in Loop: Header=BB0_7 Depth=1
	s_and_not1_saveexec_b32 s81, s81
; %bb.1521:                             ;   in Loop: Header=BB0_7 Depth=1
	s_delay_alu instid0(VALU_DEP_1)
	v_or_b32_e32 v1, 0x7c00, v1
; %bb.1522:                             ;   in Loop: Header=BB0_7 Depth=1
	s_or_b32 exec_lo, exec_lo, s81
.LBB0_1523:                             ;   in Loop: Header=BB0_7 Depth=1
	s_delay_alu instid0(SALU_CYCLE_1) | instskip(SKIP_1) | instid1(SALU_CYCLE_1)
	s_or_b32 exec_lo, exec_lo, s80
	s_or_b32 s80, s33, 14
	v_cmp_ge_u32_e32 vcc_lo, s80, v0
	s_and_saveexec_b32 s80, vcc_lo
	s_delay_alu instid0(SALU_CYCLE_1)
	s_xor_b32 s80, exec_lo, s80
; %bb.1524:                             ;   in Loop: Header=BB0_7 Depth=1
	v_add_nc_u32_e32 v1, 0x7c0000, v1
; %bb.1525:                             ;   in Loop: Header=BB0_7 Depth=1
	s_and_not1_saveexec_b32 s80, s80
	s_cbranch_execz .LBB0_1649
; %bb.1526:                             ;   in Loop: Header=BB0_7 Depth=1
	s_add_co_i32 s81, s62, 0
	s_delay_alu instid0(SALU_CYCLE_1)
	v_mov_b32_e32 v8, s81
	s_mov_b32 s81, exec_lo
	ds_load_2addr_b64 v[12:15], v8 offset0:42 offset1:43
	ds_load_b64 v[16:17], v8 offset:352
	s_wait_dscnt 0x1
	v_mul_f64_e32 v[8:9], v[4:5], v[14:15]
	s_delay_alu instid0(VALU_DEP_1) | instskip(SKIP_1) | instid1(VALU_DEP_1)
	v_fmac_f64_e32 v[8:9], v[2:3], v[12:13]
	s_wait_dscnt 0x0
	v_fmac_f64_e32 v[8:9], v[6:7], v[16:17]
	s_delay_alu instid0(VALU_DEP_1)
	v_cmpx_ngt_f64_e32 s[60:61], v[8:9]
	s_xor_b32 s81, exec_lo, s81
	s_cbranch_execz .LBB0_1646
; %bb.1527:                             ;   in Loop: Header=BB0_7 Depth=1
	s_mov_b32 s82, exec_lo
	v_cmpx_ngt_f64_e32 s[66:67], v[8:9]
	s_xor_b32 s82, exec_lo, s82
	s_cbranch_execz .LBB0_1643
; %bb.1528:                             ;   in Loop: Header=BB0_7 Depth=1
	s_mov_b32 s83, exec_lo
	;; [unrolled: 5-line block ×21, first 2 shown]
	v_cmpx_ngt_f64_e32 s[18:19], v[8:9]
	s_xor_b32 s104, exec_lo, s104
	s_cbranch_execz .LBB0_1583
; %bb.1548:                             ;   in Loop: Header=BB0_7 Depth=1
	s_mov_b32 vcc_hi, exec_lo
	v_cmpx_ngt_f64_e32 s[16:17], v[8:9]
	s_xor_b32 vcc_hi, exec_lo, vcc_hi
	s_delay_alu instid0(SALU_CYCLE_1)
	v_writelane_b32 v18, vcc_hi, 0
	s_cbranch_execz .LBB0_1580
; %bb.1549:                             ;   in Loop: Header=BB0_7 Depth=1
	s_mov_b32 vcc_hi, exec_lo
	v_cmpx_ngt_f64_e32 s[50:51], v[8:9]
	s_xor_b32 vcc_hi, exec_lo, vcc_hi
	s_delay_alu instid0(SALU_CYCLE_1)
	v_writelane_b32 v18, vcc_hi, 1
	;; [unrolled: 7-line block ×8, first 2 shown]
	s_cbranch_execz .LBB0_1559
; %bb.1556:                             ;   in Loop: Header=BB0_7 Depth=1
	s_mov_b32 vcc_lo, exec_lo
	v_cmpx_gt_f64_e32 s[36:37], v[8:9]
; %bb.1557:                             ;   in Loop: Header=BB0_7 Depth=1
	v_add_nc_u32_e32 v1, 0x40000, v1
; %bb.1558:                             ;   in Loop: Header=BB0_7 Depth=1
	s_or_b32 exec_lo, exec_lo, vcc_lo
.LBB0_1559:                             ;   in Loop: Header=BB0_7 Depth=1
	s_delay_alu instid0(VALU_DEP_1)
	v_readlane_b32 vcc_lo, v18, 8
	s_and_not1_saveexec_b32 vcc_lo, vcc_lo
; %bb.1560:                             ;   in Loop: Header=BB0_7 Depth=1
	v_add_nc_u32_e32 v1, 0x80000, v1
; %bb.1561:                             ;   in Loop: Header=BB0_7 Depth=1
	s_or_b32 exec_lo, exec_lo, vcc_lo
.LBB0_1562:                             ;   in Loop: Header=BB0_7 Depth=1
	s_delay_alu instid0(VALU_DEP_1)
	v_readlane_b32 vcc_lo, v18, 6
	s_and_not1_saveexec_b32 vcc_lo, vcc_lo
; %bb.1563:                             ;   in Loop: Header=BB0_7 Depth=1
	v_add_nc_u32_e32 v1, 0xc0000, v1
; %bb.1564:                             ;   in Loop: Header=BB0_7 Depth=1
	s_or_b32 exec_lo, exec_lo, vcc_lo
.LBB0_1565:                             ;   in Loop: Header=BB0_7 Depth=1
	s_delay_alu instid0(VALU_DEP_1)
	v_readlane_b32 vcc_lo, v18, 5
	s_and_not1_saveexec_b32 vcc_lo, vcc_lo
; %bb.1566:                             ;   in Loop: Header=BB0_7 Depth=1
	v_add_nc_u32_e32 v1, 0x100000, v1
; %bb.1567:                             ;   in Loop: Header=BB0_7 Depth=1
	s_or_b32 exec_lo, exec_lo, vcc_lo
.LBB0_1568:                             ;   in Loop: Header=BB0_7 Depth=1
	s_delay_alu instid0(VALU_DEP_1)
	v_readlane_b32 vcc_lo, v18, 4
	s_and_not1_saveexec_b32 vcc_lo, vcc_lo
; %bb.1569:                             ;   in Loop: Header=BB0_7 Depth=1
	v_add_nc_u32_e32 v1, 0x140000, v1
; %bb.1570:                             ;   in Loop: Header=BB0_7 Depth=1
	s_or_b32 exec_lo, exec_lo, vcc_lo
.LBB0_1571:                             ;   in Loop: Header=BB0_7 Depth=1
	s_delay_alu instid0(VALU_DEP_1)
	v_readlane_b32 vcc_lo, v18, 3
	s_and_not1_saveexec_b32 vcc_lo, vcc_lo
; %bb.1572:                             ;   in Loop: Header=BB0_7 Depth=1
	v_add_nc_u32_e32 v1, 0x180000, v1
; %bb.1573:                             ;   in Loop: Header=BB0_7 Depth=1
	s_or_b32 exec_lo, exec_lo, vcc_lo
.LBB0_1574:                             ;   in Loop: Header=BB0_7 Depth=1
	s_delay_alu instid0(VALU_DEP_1)
	v_readlane_b32 vcc_lo, v18, 2
	s_and_not1_saveexec_b32 vcc_lo, vcc_lo
; %bb.1575:                             ;   in Loop: Header=BB0_7 Depth=1
	v_add_nc_u32_e32 v1, 0x1c0000, v1
; %bb.1576:                             ;   in Loop: Header=BB0_7 Depth=1
	s_or_b32 exec_lo, exec_lo, vcc_lo
.LBB0_1577:                             ;   in Loop: Header=BB0_7 Depth=1
	s_delay_alu instid0(VALU_DEP_1)
	v_readlane_b32 vcc_lo, v18, 1
	s_and_not1_saveexec_b32 vcc_lo, vcc_lo
; %bb.1578:                             ;   in Loop: Header=BB0_7 Depth=1
	v_add_nc_u32_e32 v1, 0x200000, v1
; %bb.1579:                             ;   in Loop: Header=BB0_7 Depth=1
	s_or_b32 exec_lo, exec_lo, vcc_lo
.LBB0_1580:                             ;   in Loop: Header=BB0_7 Depth=1
	s_delay_alu instid0(VALU_DEP_1)
	v_readlane_b32 vcc_lo, v18, 0
	s_and_not1_saveexec_b32 vcc_lo, vcc_lo
; %bb.1581:                             ;   in Loop: Header=BB0_7 Depth=1
	v_add_nc_u32_e32 v1, 0x240000, v1
; %bb.1582:                             ;   in Loop: Header=BB0_7 Depth=1
	s_or_b32 exec_lo, exec_lo, vcc_lo
.LBB0_1583:                             ;   in Loop: Header=BB0_7 Depth=1
	s_and_not1_saveexec_b32 s104, s104
; %bb.1584:                             ;   in Loop: Header=BB0_7 Depth=1
	s_delay_alu instid0(VALU_DEP_1)
	v_add_nc_u32_e32 v1, 0x280000, v1
; %bb.1585:                             ;   in Loop: Header=BB0_7 Depth=1
	s_or_b32 exec_lo, exec_lo, s104
.LBB0_1586:                             ;   in Loop: Header=BB0_7 Depth=1
	s_and_not1_saveexec_b32 s101, s101
; %bb.1587:                             ;   in Loop: Header=BB0_7 Depth=1
	s_delay_alu instid0(VALU_DEP_1)
	v_add_nc_u32_e32 v1, 0x2c0000, v1
; %bb.1588:                             ;   in Loop: Header=BB0_7 Depth=1
	s_or_b32 exec_lo, exec_lo, s101
.LBB0_1589:                             ;   in Loop: Header=BB0_7 Depth=1
	s_and_not1_saveexec_b32 s100, s100
; %bb.1590:                             ;   in Loop: Header=BB0_7 Depth=1
	s_delay_alu instid0(VALU_DEP_1)
	v_add_nc_u32_e32 v1, 0x300000, v1
; %bb.1591:                             ;   in Loop: Header=BB0_7 Depth=1
	s_or_b32 exec_lo, exec_lo, s100
.LBB0_1592:                             ;   in Loop: Header=BB0_7 Depth=1
	s_and_not1_saveexec_b32 s99, s99
; %bb.1593:                             ;   in Loop: Header=BB0_7 Depth=1
	s_delay_alu instid0(VALU_DEP_1)
	v_add_nc_u32_e32 v1, 0x340000, v1
; %bb.1594:                             ;   in Loop: Header=BB0_7 Depth=1
	s_or_b32 exec_lo, exec_lo, s99
.LBB0_1595:                             ;   in Loop: Header=BB0_7 Depth=1
	s_and_not1_saveexec_b32 s98, s98
; %bb.1596:                             ;   in Loop: Header=BB0_7 Depth=1
	s_delay_alu instid0(VALU_DEP_1)
	v_add_nc_u32_e32 v1, 0x380000, v1
; %bb.1597:                             ;   in Loop: Header=BB0_7 Depth=1
	s_or_b32 exec_lo, exec_lo, s98
.LBB0_1598:                             ;   in Loop: Header=BB0_7 Depth=1
	s_and_not1_saveexec_b32 s97, s97
; %bb.1599:                             ;   in Loop: Header=BB0_7 Depth=1
	s_delay_alu instid0(VALU_DEP_1)
	v_add_nc_u32_e32 v1, 0x3c0000, v1
; %bb.1600:                             ;   in Loop: Header=BB0_7 Depth=1
	s_or_b32 exec_lo, exec_lo, s97
.LBB0_1601:                             ;   in Loop: Header=BB0_7 Depth=1
	s_and_not1_saveexec_b32 s96, s96
; %bb.1602:                             ;   in Loop: Header=BB0_7 Depth=1
	s_delay_alu instid0(VALU_DEP_1)
	v_add_nc_u32_e32 v1, 0x400000, v1
; %bb.1603:                             ;   in Loop: Header=BB0_7 Depth=1
	s_or_b32 exec_lo, exec_lo, s96
.LBB0_1604:                             ;   in Loop: Header=BB0_7 Depth=1
	s_and_not1_saveexec_b32 s95, s95
; %bb.1605:                             ;   in Loop: Header=BB0_7 Depth=1
	s_delay_alu instid0(VALU_DEP_1)
	v_add_nc_u32_e32 v1, 0x440000, v1
; %bb.1606:                             ;   in Loop: Header=BB0_7 Depth=1
	s_or_b32 exec_lo, exec_lo, s95
.LBB0_1607:                             ;   in Loop: Header=BB0_7 Depth=1
	s_and_not1_saveexec_b32 s94, s94
; %bb.1608:                             ;   in Loop: Header=BB0_7 Depth=1
	s_delay_alu instid0(VALU_DEP_1)
	v_add_nc_u32_e32 v1, 0x480000, v1
; %bb.1609:                             ;   in Loop: Header=BB0_7 Depth=1
	s_or_b32 exec_lo, exec_lo, s94
.LBB0_1610:                             ;   in Loop: Header=BB0_7 Depth=1
	s_and_not1_saveexec_b32 s93, s93
; %bb.1611:                             ;   in Loop: Header=BB0_7 Depth=1
	s_delay_alu instid0(VALU_DEP_1)
	v_add_nc_u32_e32 v1, 0x4c0000, v1
; %bb.1612:                             ;   in Loop: Header=BB0_7 Depth=1
	s_or_b32 exec_lo, exec_lo, s93
.LBB0_1613:                             ;   in Loop: Header=BB0_7 Depth=1
	s_and_not1_saveexec_b32 s92, s92
; %bb.1614:                             ;   in Loop: Header=BB0_7 Depth=1
	s_delay_alu instid0(VALU_DEP_1)
	v_add_nc_u32_e32 v1, 0x500000, v1
; %bb.1615:                             ;   in Loop: Header=BB0_7 Depth=1
	s_or_b32 exec_lo, exec_lo, s92
.LBB0_1616:                             ;   in Loop: Header=BB0_7 Depth=1
	s_and_not1_saveexec_b32 s91, s91
; %bb.1617:                             ;   in Loop: Header=BB0_7 Depth=1
	s_delay_alu instid0(VALU_DEP_1)
	v_add_nc_u32_e32 v1, 0x540000, v1
; %bb.1618:                             ;   in Loop: Header=BB0_7 Depth=1
	s_or_b32 exec_lo, exec_lo, s91
.LBB0_1619:                             ;   in Loop: Header=BB0_7 Depth=1
	s_and_not1_saveexec_b32 s90, s90
; %bb.1620:                             ;   in Loop: Header=BB0_7 Depth=1
	s_delay_alu instid0(VALU_DEP_1)
	v_add_nc_u32_e32 v1, 0x580000, v1
; %bb.1621:                             ;   in Loop: Header=BB0_7 Depth=1
	s_or_b32 exec_lo, exec_lo, s90
.LBB0_1622:                             ;   in Loop: Header=BB0_7 Depth=1
	s_and_not1_saveexec_b32 s89, s89
; %bb.1623:                             ;   in Loop: Header=BB0_7 Depth=1
	s_delay_alu instid0(VALU_DEP_1)
	v_add_nc_u32_e32 v1, 0x5c0000, v1
; %bb.1624:                             ;   in Loop: Header=BB0_7 Depth=1
	s_or_b32 exec_lo, exec_lo, s89
.LBB0_1625:                             ;   in Loop: Header=BB0_7 Depth=1
	s_and_not1_saveexec_b32 s88, s88
; %bb.1626:                             ;   in Loop: Header=BB0_7 Depth=1
	s_delay_alu instid0(VALU_DEP_1)
	v_add_nc_u32_e32 v1, 0x600000, v1
; %bb.1627:                             ;   in Loop: Header=BB0_7 Depth=1
	s_or_b32 exec_lo, exec_lo, s88
.LBB0_1628:                             ;   in Loop: Header=BB0_7 Depth=1
	s_and_not1_saveexec_b32 s87, s87
; %bb.1629:                             ;   in Loop: Header=BB0_7 Depth=1
	s_delay_alu instid0(VALU_DEP_1)
	v_add_nc_u32_e32 v1, 0x640000, v1
; %bb.1630:                             ;   in Loop: Header=BB0_7 Depth=1
	s_or_b32 exec_lo, exec_lo, s87
.LBB0_1631:                             ;   in Loop: Header=BB0_7 Depth=1
	s_and_not1_saveexec_b32 s86, s86
; %bb.1632:                             ;   in Loop: Header=BB0_7 Depth=1
	s_delay_alu instid0(VALU_DEP_1)
	v_add_nc_u32_e32 v1, 0x680000, v1
; %bb.1633:                             ;   in Loop: Header=BB0_7 Depth=1
	s_or_b32 exec_lo, exec_lo, s86
.LBB0_1634:                             ;   in Loop: Header=BB0_7 Depth=1
	s_and_not1_saveexec_b32 s85, s85
; %bb.1635:                             ;   in Loop: Header=BB0_7 Depth=1
	s_delay_alu instid0(VALU_DEP_1)
	v_add_nc_u32_e32 v1, 0x6c0000, v1
; %bb.1636:                             ;   in Loop: Header=BB0_7 Depth=1
	s_or_b32 exec_lo, exec_lo, s85
.LBB0_1637:                             ;   in Loop: Header=BB0_7 Depth=1
	s_and_not1_saveexec_b32 s84, s84
; %bb.1638:                             ;   in Loop: Header=BB0_7 Depth=1
	s_delay_alu instid0(VALU_DEP_1)
	v_add_nc_u32_e32 v1, 0x700000, v1
; %bb.1639:                             ;   in Loop: Header=BB0_7 Depth=1
	s_or_b32 exec_lo, exec_lo, s84
.LBB0_1640:                             ;   in Loop: Header=BB0_7 Depth=1
	s_and_not1_saveexec_b32 s83, s83
; %bb.1641:                             ;   in Loop: Header=BB0_7 Depth=1
	s_delay_alu instid0(VALU_DEP_1)
	v_add_nc_u32_e32 v1, 0x740000, v1
; %bb.1642:                             ;   in Loop: Header=BB0_7 Depth=1
	s_or_b32 exec_lo, exec_lo, s83
.LBB0_1643:                             ;   in Loop: Header=BB0_7 Depth=1
	s_and_not1_saveexec_b32 s82, s82
; %bb.1644:                             ;   in Loop: Header=BB0_7 Depth=1
	s_delay_alu instid0(VALU_DEP_1)
	v_add_nc_u32_e32 v1, 0x780000, v1
; %bb.1645:                             ;   in Loop: Header=BB0_7 Depth=1
	s_or_b32 exec_lo, exec_lo, s82
.LBB0_1646:                             ;   in Loop: Header=BB0_7 Depth=1
	s_and_not1_saveexec_b32 s81, s81
; %bb.1647:                             ;   in Loop: Header=BB0_7 Depth=1
	s_delay_alu instid0(VALU_DEP_1)
	v_add_nc_u32_e32 v1, 0x7c0000, v1
; %bb.1648:                             ;   in Loop: Header=BB0_7 Depth=1
	s_or_b32 exec_lo, exec_lo, s81
.LBB0_1649:                             ;   in Loop: Header=BB0_7 Depth=1
	s_delay_alu instid0(SALU_CYCLE_1) | instskip(SKIP_1) | instid1(SALU_CYCLE_1)
	s_or_b32 exec_lo, exec_lo, s80
	s_or_b32 s80, s33, 15
	v_cmp_ge_u32_e32 vcc_lo, s80, v0
	s_and_saveexec_b32 s80, vcc_lo
	s_delay_alu instid0(SALU_CYCLE_1)
	s_xor_b32 s80, exec_lo, s80
; %bb.1650:                             ;   in Loop: Header=BB0_7 Depth=1
	v_add_nc_u32_e32 v1, 0x7c000000, v1
; %bb.1651:                             ;   in Loop: Header=BB0_7 Depth=1
	s_and_not1_saveexec_b32 s80, s80
	s_cbranch_execz .LBB0_1775
; %bb.1652:                             ;   in Loop: Header=BB0_7 Depth=1
	s_add_co_i32 s81, s62, 0
	s_delay_alu instid0(SALU_CYCLE_1)
	v_mov_b32_e32 v8, s81
	s_mov_b32 s81, exec_lo
	ds_load_2addr_b64 v[12:15], v8 offset0:45 offset1:46
	ds_load_b64 v[16:17], v8 offset:376
	s_wait_dscnt 0x1
	v_mul_f64_e32 v[8:9], v[4:5], v[14:15]
	s_delay_alu instid0(VALU_DEP_1) | instskip(SKIP_1) | instid1(VALU_DEP_1)
	v_fmac_f64_e32 v[8:9], v[2:3], v[12:13]
	s_wait_dscnt 0x0
	v_fmac_f64_e32 v[8:9], v[6:7], v[16:17]
	s_delay_alu instid0(VALU_DEP_1)
	v_cmpx_ngt_f64_e32 s[60:61], v[8:9]
	s_xor_b32 s81, exec_lo, s81
	s_cbranch_execz .LBB0_1772
; %bb.1653:                             ;   in Loop: Header=BB0_7 Depth=1
	s_mov_b32 s82, exec_lo
	v_cmpx_ngt_f64_e32 s[66:67], v[8:9]
	s_xor_b32 s82, exec_lo, s82
	s_cbranch_execz .LBB0_1769
; %bb.1654:                             ;   in Loop: Header=BB0_7 Depth=1
	s_mov_b32 s83, exec_lo
	;; [unrolled: 5-line block ×21, first 2 shown]
	v_cmpx_ngt_f64_e32 s[18:19], v[8:9]
	s_xor_b32 s104, exec_lo, s104
	s_cbranch_execz .LBB0_1709
; %bb.1674:                             ;   in Loop: Header=BB0_7 Depth=1
	s_mov_b32 vcc_hi, exec_lo
	v_cmpx_ngt_f64_e32 s[16:17], v[8:9]
	s_xor_b32 vcc_hi, exec_lo, vcc_hi
	s_delay_alu instid0(SALU_CYCLE_1)
	v_writelane_b32 v18, vcc_hi, 0
	s_cbranch_execz .LBB0_1706
; %bb.1675:                             ;   in Loop: Header=BB0_7 Depth=1
	s_mov_b32 vcc_hi, exec_lo
	v_cmpx_ngt_f64_e32 s[50:51], v[8:9]
	s_xor_b32 vcc_hi, exec_lo, vcc_hi
	s_delay_alu instid0(SALU_CYCLE_1)
	v_writelane_b32 v18, vcc_hi, 1
	;; [unrolled: 7-line block ×8, first 2 shown]
	s_cbranch_execz .LBB0_1685
; %bb.1682:                             ;   in Loop: Header=BB0_7 Depth=1
	s_mov_b32 vcc_lo, exec_lo
	v_cmpx_gt_f64_e32 s[36:37], v[8:9]
; %bb.1683:                             ;   in Loop: Header=BB0_7 Depth=1
	v_add_nc_u32_e32 v1, 0x4000000, v1
; %bb.1684:                             ;   in Loop: Header=BB0_7 Depth=1
	s_or_b32 exec_lo, exec_lo, vcc_lo
.LBB0_1685:                             ;   in Loop: Header=BB0_7 Depth=1
	s_delay_alu instid0(VALU_DEP_1)
	v_readlane_b32 vcc_lo, v18, 8
	s_and_not1_saveexec_b32 vcc_lo, vcc_lo
; %bb.1686:                             ;   in Loop: Header=BB0_7 Depth=1
	v_add_nc_u32_e32 v1, 0x8000000, v1
; %bb.1687:                             ;   in Loop: Header=BB0_7 Depth=1
	s_or_b32 exec_lo, exec_lo, vcc_lo
.LBB0_1688:                             ;   in Loop: Header=BB0_7 Depth=1
	s_delay_alu instid0(VALU_DEP_1)
	v_readlane_b32 vcc_lo, v18, 6
	s_and_not1_saveexec_b32 vcc_lo, vcc_lo
; %bb.1689:                             ;   in Loop: Header=BB0_7 Depth=1
	v_add_nc_u32_e32 v1, 0xc000000, v1
; %bb.1690:                             ;   in Loop: Header=BB0_7 Depth=1
	s_or_b32 exec_lo, exec_lo, vcc_lo
.LBB0_1691:                             ;   in Loop: Header=BB0_7 Depth=1
	s_delay_alu instid0(VALU_DEP_1)
	v_readlane_b32 vcc_lo, v18, 5
	s_and_not1_saveexec_b32 vcc_lo, vcc_lo
; %bb.1692:                             ;   in Loop: Header=BB0_7 Depth=1
	v_add_nc_u32_e32 v1, 0x10000000, v1
; %bb.1693:                             ;   in Loop: Header=BB0_7 Depth=1
	s_or_b32 exec_lo, exec_lo, vcc_lo
.LBB0_1694:                             ;   in Loop: Header=BB0_7 Depth=1
	s_delay_alu instid0(VALU_DEP_1)
	v_readlane_b32 vcc_lo, v18, 4
	s_and_not1_saveexec_b32 vcc_lo, vcc_lo
; %bb.1695:                             ;   in Loop: Header=BB0_7 Depth=1
	v_add_nc_u32_e32 v1, 0x14000000, v1
; %bb.1696:                             ;   in Loop: Header=BB0_7 Depth=1
	s_or_b32 exec_lo, exec_lo, vcc_lo
.LBB0_1697:                             ;   in Loop: Header=BB0_7 Depth=1
	s_delay_alu instid0(VALU_DEP_1)
	v_readlane_b32 vcc_lo, v18, 3
	s_and_not1_saveexec_b32 vcc_lo, vcc_lo
; %bb.1698:                             ;   in Loop: Header=BB0_7 Depth=1
	v_add_nc_u32_e32 v1, 0x18000000, v1
; %bb.1699:                             ;   in Loop: Header=BB0_7 Depth=1
	s_or_b32 exec_lo, exec_lo, vcc_lo
.LBB0_1700:                             ;   in Loop: Header=BB0_7 Depth=1
	s_delay_alu instid0(VALU_DEP_1)
	v_readlane_b32 vcc_lo, v18, 2
	s_and_not1_saveexec_b32 vcc_lo, vcc_lo
; %bb.1701:                             ;   in Loop: Header=BB0_7 Depth=1
	v_add_nc_u32_e32 v1, 0x1c000000, v1
; %bb.1702:                             ;   in Loop: Header=BB0_7 Depth=1
	s_or_b32 exec_lo, exec_lo, vcc_lo
.LBB0_1703:                             ;   in Loop: Header=BB0_7 Depth=1
	s_delay_alu instid0(VALU_DEP_1)
	v_readlane_b32 vcc_lo, v18, 1
	s_and_not1_saveexec_b32 vcc_lo, vcc_lo
; %bb.1704:                             ;   in Loop: Header=BB0_7 Depth=1
	v_add_nc_u32_e32 v1, 0x20000000, v1
; %bb.1705:                             ;   in Loop: Header=BB0_7 Depth=1
	s_or_b32 exec_lo, exec_lo, vcc_lo
.LBB0_1706:                             ;   in Loop: Header=BB0_7 Depth=1
	s_delay_alu instid0(VALU_DEP_1)
	v_readlane_b32 vcc_lo, v18, 0
	s_and_not1_saveexec_b32 vcc_lo, vcc_lo
; %bb.1707:                             ;   in Loop: Header=BB0_7 Depth=1
	v_add_nc_u32_e32 v1, 0x24000000, v1
; %bb.1708:                             ;   in Loop: Header=BB0_7 Depth=1
	s_or_b32 exec_lo, exec_lo, vcc_lo
.LBB0_1709:                             ;   in Loop: Header=BB0_7 Depth=1
	s_and_not1_saveexec_b32 s104, s104
; %bb.1710:                             ;   in Loop: Header=BB0_7 Depth=1
	s_delay_alu instid0(VALU_DEP_1)
	v_add_nc_u32_e32 v1, 0x28000000, v1
; %bb.1711:                             ;   in Loop: Header=BB0_7 Depth=1
	s_or_b32 exec_lo, exec_lo, s104
.LBB0_1712:                             ;   in Loop: Header=BB0_7 Depth=1
	s_and_not1_saveexec_b32 s101, s101
; %bb.1713:                             ;   in Loop: Header=BB0_7 Depth=1
	s_delay_alu instid0(VALU_DEP_1)
	v_add_nc_u32_e32 v1, 0x2c000000, v1
; %bb.1714:                             ;   in Loop: Header=BB0_7 Depth=1
	s_or_b32 exec_lo, exec_lo, s101
.LBB0_1715:                             ;   in Loop: Header=BB0_7 Depth=1
	s_and_not1_saveexec_b32 s100, s100
; %bb.1716:                             ;   in Loop: Header=BB0_7 Depth=1
	s_delay_alu instid0(VALU_DEP_1)
	v_add_nc_u32_e32 v1, 0x30000000, v1
; %bb.1717:                             ;   in Loop: Header=BB0_7 Depth=1
	s_or_b32 exec_lo, exec_lo, s100
.LBB0_1718:                             ;   in Loop: Header=BB0_7 Depth=1
	s_and_not1_saveexec_b32 s99, s99
; %bb.1719:                             ;   in Loop: Header=BB0_7 Depth=1
	s_delay_alu instid0(VALU_DEP_1)
	v_add_nc_u32_e32 v1, 0x34000000, v1
; %bb.1720:                             ;   in Loop: Header=BB0_7 Depth=1
	s_or_b32 exec_lo, exec_lo, s99
.LBB0_1721:                             ;   in Loop: Header=BB0_7 Depth=1
	s_and_not1_saveexec_b32 s98, s98
; %bb.1722:                             ;   in Loop: Header=BB0_7 Depth=1
	s_delay_alu instid0(VALU_DEP_1)
	v_add_nc_u32_e32 v1, 0x38000000, v1
; %bb.1723:                             ;   in Loop: Header=BB0_7 Depth=1
	s_or_b32 exec_lo, exec_lo, s98
.LBB0_1724:                             ;   in Loop: Header=BB0_7 Depth=1
	s_and_not1_saveexec_b32 s97, s97
; %bb.1725:                             ;   in Loop: Header=BB0_7 Depth=1
	s_delay_alu instid0(VALU_DEP_1)
	v_add_nc_u32_e32 v1, 0x3c000000, v1
; %bb.1726:                             ;   in Loop: Header=BB0_7 Depth=1
	s_or_b32 exec_lo, exec_lo, s97
.LBB0_1727:                             ;   in Loop: Header=BB0_7 Depth=1
	s_and_not1_saveexec_b32 s96, s96
; %bb.1728:                             ;   in Loop: Header=BB0_7 Depth=1
	s_delay_alu instid0(VALU_DEP_1)
	v_add_nc_u32_e32 v1, 2.0, v1
; %bb.1729:                             ;   in Loop: Header=BB0_7 Depth=1
	s_or_b32 exec_lo, exec_lo, s96
.LBB0_1730:                             ;   in Loop: Header=BB0_7 Depth=1
	s_and_not1_saveexec_b32 s95, s95
; %bb.1731:                             ;   in Loop: Header=BB0_7 Depth=1
	s_delay_alu instid0(VALU_DEP_1)
	v_add_nc_u32_e32 v1, 0x44000000, v1
; %bb.1732:                             ;   in Loop: Header=BB0_7 Depth=1
	s_or_b32 exec_lo, exec_lo, s95
.LBB0_1733:                             ;   in Loop: Header=BB0_7 Depth=1
	s_and_not1_saveexec_b32 s94, s94
; %bb.1734:                             ;   in Loop: Header=BB0_7 Depth=1
	s_delay_alu instid0(VALU_DEP_1)
	v_add_nc_u32_e32 v1, 0x48000000, v1
; %bb.1735:                             ;   in Loop: Header=BB0_7 Depth=1
	s_or_b32 exec_lo, exec_lo, s94
.LBB0_1736:                             ;   in Loop: Header=BB0_7 Depth=1
	s_and_not1_saveexec_b32 s93, s93
; %bb.1737:                             ;   in Loop: Header=BB0_7 Depth=1
	s_delay_alu instid0(VALU_DEP_1)
	v_add_nc_u32_e32 v1, 0x4c000000, v1
; %bb.1738:                             ;   in Loop: Header=BB0_7 Depth=1
	s_or_b32 exec_lo, exec_lo, s93
.LBB0_1739:                             ;   in Loop: Header=BB0_7 Depth=1
	s_and_not1_saveexec_b32 s92, s92
; %bb.1740:                             ;   in Loop: Header=BB0_7 Depth=1
	s_delay_alu instid0(VALU_DEP_1)
	v_add_nc_u32_e32 v1, 0x50000000, v1
; %bb.1741:                             ;   in Loop: Header=BB0_7 Depth=1
	s_or_b32 exec_lo, exec_lo, s92
.LBB0_1742:                             ;   in Loop: Header=BB0_7 Depth=1
	s_and_not1_saveexec_b32 s91, s91
; %bb.1743:                             ;   in Loop: Header=BB0_7 Depth=1
	s_delay_alu instid0(VALU_DEP_1)
	v_add_nc_u32_e32 v1, 0x54000000, v1
; %bb.1744:                             ;   in Loop: Header=BB0_7 Depth=1
	s_or_b32 exec_lo, exec_lo, s91
.LBB0_1745:                             ;   in Loop: Header=BB0_7 Depth=1
	s_and_not1_saveexec_b32 s90, s90
; %bb.1746:                             ;   in Loop: Header=BB0_7 Depth=1
	s_delay_alu instid0(VALU_DEP_1)
	v_add_nc_u32_e32 v1, 0x58000000, v1
; %bb.1747:                             ;   in Loop: Header=BB0_7 Depth=1
	s_or_b32 exec_lo, exec_lo, s90
.LBB0_1748:                             ;   in Loop: Header=BB0_7 Depth=1
	s_and_not1_saveexec_b32 s89, s89
; %bb.1749:                             ;   in Loop: Header=BB0_7 Depth=1
	s_delay_alu instid0(VALU_DEP_1)
	v_add_nc_u32_e32 v1, 0x5c000000, v1
; %bb.1750:                             ;   in Loop: Header=BB0_7 Depth=1
	s_or_b32 exec_lo, exec_lo, s89
.LBB0_1751:                             ;   in Loop: Header=BB0_7 Depth=1
	s_and_not1_saveexec_b32 s88, s88
; %bb.1752:                             ;   in Loop: Header=BB0_7 Depth=1
	s_delay_alu instid0(VALU_DEP_1)
	v_add_nc_u32_e32 v1, 0x60000000, v1
; %bb.1753:                             ;   in Loop: Header=BB0_7 Depth=1
	s_or_b32 exec_lo, exec_lo, s88
.LBB0_1754:                             ;   in Loop: Header=BB0_7 Depth=1
	s_and_not1_saveexec_b32 s87, s87
; %bb.1755:                             ;   in Loop: Header=BB0_7 Depth=1
	s_delay_alu instid0(VALU_DEP_1)
	v_add_nc_u32_e32 v1, 0x64000000, v1
; %bb.1756:                             ;   in Loop: Header=BB0_7 Depth=1
	s_or_b32 exec_lo, exec_lo, s87
.LBB0_1757:                             ;   in Loop: Header=BB0_7 Depth=1
	s_and_not1_saveexec_b32 s86, s86
; %bb.1758:                             ;   in Loop: Header=BB0_7 Depth=1
	s_delay_alu instid0(VALU_DEP_1)
	v_add_nc_u32_e32 v1, 0x68000000, v1
; %bb.1759:                             ;   in Loop: Header=BB0_7 Depth=1
	s_or_b32 exec_lo, exec_lo, s86
.LBB0_1760:                             ;   in Loop: Header=BB0_7 Depth=1
	s_and_not1_saveexec_b32 s85, s85
; %bb.1761:                             ;   in Loop: Header=BB0_7 Depth=1
	s_delay_alu instid0(VALU_DEP_1)
	v_add_nc_u32_e32 v1, 0x6c000000, v1
; %bb.1762:                             ;   in Loop: Header=BB0_7 Depth=1
	s_or_b32 exec_lo, exec_lo, s85
.LBB0_1763:                             ;   in Loop: Header=BB0_7 Depth=1
	s_and_not1_saveexec_b32 s84, s84
; %bb.1764:                             ;   in Loop: Header=BB0_7 Depth=1
	s_delay_alu instid0(VALU_DEP_1)
	v_add_nc_u32_e32 v1, 0x70000000, v1
; %bb.1765:                             ;   in Loop: Header=BB0_7 Depth=1
	s_or_b32 exec_lo, exec_lo, s84
.LBB0_1766:                             ;   in Loop: Header=BB0_7 Depth=1
	s_and_not1_saveexec_b32 s83, s83
; %bb.1767:                             ;   in Loop: Header=BB0_7 Depth=1
	s_delay_alu instid0(VALU_DEP_1)
	v_add_nc_u32_e32 v1, 0x74000000, v1
; %bb.1768:                             ;   in Loop: Header=BB0_7 Depth=1
	s_or_b32 exec_lo, exec_lo, s83
.LBB0_1769:                             ;   in Loop: Header=BB0_7 Depth=1
	s_and_not1_saveexec_b32 s82, s82
; %bb.1770:                             ;   in Loop: Header=BB0_7 Depth=1
	s_delay_alu instid0(VALU_DEP_1)
	v_add_nc_u32_e32 v1, 0x78000000, v1
; %bb.1771:                             ;   in Loop: Header=BB0_7 Depth=1
	s_or_b32 exec_lo, exec_lo, s82
.LBB0_1772:                             ;   in Loop: Header=BB0_7 Depth=1
	s_and_not1_saveexec_b32 s81, s81
; %bb.1773:                             ;   in Loop: Header=BB0_7 Depth=1
	s_delay_alu instid0(VALU_DEP_1)
	v_add_nc_u32_e32 v1, 0x7c000000, v1
; %bb.1774:                             ;   in Loop: Header=BB0_7 Depth=1
	s_or_b32 exec_lo, exec_lo, s81
.LBB0_1775:                             ;   in Loop: Header=BB0_7 Depth=1
	s_delay_alu instid0(SALU_CYCLE_1)
	s_or_b32 exec_lo, exec_lo, s80
	v_lshl_add_u32 v8, s63, 12, v10
	v_mov_b32_e32 v11, 0x7c
	s_or_b32 s80, s33, 16
	s_mov_b32 s63, exec_lo
	global_store_b32 v8, v1, s[34:35] scale_offset
	s_wait_xcnt 0x0
	v_cmpx_lt_u32_e64 s80, v0
	s_cbranch_execz .LBB0_1839
; %bb.1776:                             ;   in Loop: Header=BB0_7 Depth=1
	s_add_co_i32 s81, s62, 0
	v_mov_b32_e32 v11, 0x7c
	v_mov_b32_e32 v1, s81
	s_mov_b32 s81, exec_lo
	ds_load_2addr_b64 v[12:15], v1 offset0:48 offset1:49
	ds_load_b64 v[16:17], v1 offset:400
	s_wait_dscnt 0x1
	v_mul_f64_e32 v[8:9], v[4:5], v[14:15]
	s_delay_alu instid0(VALU_DEP_1) | instskip(SKIP_1) | instid1(VALU_DEP_1)
	v_fmac_f64_e32 v[8:9], v[2:3], v[12:13]
	s_wait_dscnt 0x0
	v_fmac_f64_e32 v[8:9], v[6:7], v[16:17]
	s_delay_alu instid0(VALU_DEP_1)
	v_cmpx_ngt_f64_e32 s[60:61], v[8:9]
	s_cbranch_execz .LBB0_1838
; %bb.1777:                             ;   in Loop: Header=BB0_7 Depth=1
	v_mov_b32_e32 v11, 0x78
	s_mov_b32 s82, exec_lo
	v_cmpx_ngt_f64_e32 s[66:67], v[8:9]
	s_cbranch_execz .LBB0_1837
; %bb.1778:                             ;   in Loop: Header=BB0_7 Depth=1
	v_mov_b32_e32 v11, 0x74
	s_mov_b32 s83, exec_lo
	;; [unrolled: 5-line block ×21, first 2 shown]
	v_cmpx_ngt_f64_e32 s[18:19], v[8:9]
	s_cbranch_execz .LBB0_1817
; %bb.1798:                             ;   in Loop: Header=BB0_7 Depth=1
	v_mov_b32_e32 v11, 36
	v_cmp_ngt_f64_e32 vcc_lo, s[16:17], v[8:9]
	s_mov_b32 vcc_hi, exec_lo
	s_delay_alu instid0(SALU_CYCLE_1)
	s_and_b32 vcc_lo, vcc_hi, vcc_lo
	v_writelane_b32 v18, vcc_hi, 0
	s_mov_b32 exec_lo, vcc_lo
	s_cbranch_execz .LBB0_1816
; %bb.1799:                             ;   in Loop: Header=BB0_7 Depth=1
	v_mov_b32_e32 v11, 32
	v_cmp_ngt_f64_e32 vcc_lo, s[50:51], v[8:9]
	s_mov_b32 vcc_hi, exec_lo
	s_delay_alu instid0(SALU_CYCLE_1)
	s_and_b32 vcc_lo, vcc_hi, vcc_lo
	v_writelane_b32 v18, vcc_hi, 1
	s_mov_b32 exec_lo, vcc_lo
	;; [unrolled: 9-line block ×8, first 2 shown]
	s_cbranch_execz .LBB0_1809
; %bb.1806:                             ;   in Loop: Header=BB0_7 Depth=1
	v_mov_b32_e32 v11, 0
	s_mov_b32 vcc_hi, exec_lo
	v_cmpx_gt_f64_e32 s[36:37], v[8:9]
; %bb.1807:                             ;   in Loop: Header=BB0_7 Depth=1
	v_mov_b32_e32 v11, 4
; %bb.1808:                             ;   in Loop: Header=BB0_7 Depth=1
	s_or_b32 exec_lo, exec_lo, vcc_hi
.LBB0_1809:                             ;   in Loop: Header=BB0_7 Depth=1
	s_delay_alu instid0(VALU_DEP_1)
	v_readlane_b32 vcc_lo, v18, 8
	s_or_b32 exec_lo, exec_lo, vcc_lo
.LBB0_1810:                             ;   in Loop: Header=BB0_7 Depth=1
	s_delay_alu instid0(VALU_DEP_1)
	v_readlane_b32 vcc_lo, v18, 6
	s_or_b32 exec_lo, exec_lo, vcc_lo
.LBB0_1811:                             ;   in Loop: Header=BB0_7 Depth=1
	s_delay_alu instid0(VALU_DEP_1)
	v_readlane_b32 vcc_lo, v18, 5
	s_or_b32 exec_lo, exec_lo, vcc_lo
.LBB0_1812:                             ;   in Loop: Header=BB0_7 Depth=1
	s_delay_alu instid0(VALU_DEP_1)
	v_readlane_b32 vcc_lo, v18, 4
	s_or_b32 exec_lo, exec_lo, vcc_lo
.LBB0_1813:                             ;   in Loop: Header=BB0_7 Depth=1
	s_delay_alu instid0(VALU_DEP_1)
	v_readlane_b32 vcc_lo, v18, 3
	s_or_b32 exec_lo, exec_lo, vcc_lo
.LBB0_1814:                             ;   in Loop: Header=BB0_7 Depth=1
	s_delay_alu instid0(VALU_DEP_1)
	v_readlane_b32 vcc_lo, v18, 2
	s_or_b32 exec_lo, exec_lo, vcc_lo
.LBB0_1815:                             ;   in Loop: Header=BB0_7 Depth=1
	s_delay_alu instid0(VALU_DEP_1)
	v_readlane_b32 vcc_lo, v18, 1
	s_or_b32 exec_lo, exec_lo, vcc_lo
.LBB0_1816:                             ;   in Loop: Header=BB0_7 Depth=1
	s_delay_alu instid0(VALU_DEP_1)
	v_readlane_b32 vcc_lo, v18, 0
	s_or_b32 exec_lo, exec_lo, vcc_lo
.LBB0_1817:                             ;   in Loop: Header=BB0_7 Depth=1
	s_delay_alu instid0(SALU_CYCLE_1)
	s_or_b32 exec_lo, exec_lo, s104
.LBB0_1818:                             ;   in Loop: Header=BB0_7 Depth=1
	s_delay_alu instid0(SALU_CYCLE_1)
	s_or_b32 exec_lo, exec_lo, s101
.LBB0_1819:                             ;   in Loop: Header=BB0_7 Depth=1
	s_delay_alu instid0(SALU_CYCLE_1)
	s_or_b32 exec_lo, exec_lo, s100
.LBB0_1820:                             ;   in Loop: Header=BB0_7 Depth=1
	s_delay_alu instid0(SALU_CYCLE_1)
	s_or_b32 exec_lo, exec_lo, s99
.LBB0_1821:                             ;   in Loop: Header=BB0_7 Depth=1
	s_delay_alu instid0(SALU_CYCLE_1)
	s_or_b32 exec_lo, exec_lo, s98
.LBB0_1822:                             ;   in Loop: Header=BB0_7 Depth=1
	s_delay_alu instid0(SALU_CYCLE_1)
	s_or_b32 exec_lo, exec_lo, s97
.LBB0_1823:                             ;   in Loop: Header=BB0_7 Depth=1
	s_delay_alu instid0(SALU_CYCLE_1)
	s_or_b32 exec_lo, exec_lo, s96
.LBB0_1824:                             ;   in Loop: Header=BB0_7 Depth=1
	s_delay_alu instid0(SALU_CYCLE_1)
	s_or_b32 exec_lo, exec_lo, s95
.LBB0_1825:                             ;   in Loop: Header=BB0_7 Depth=1
	s_delay_alu instid0(SALU_CYCLE_1)
	s_or_b32 exec_lo, exec_lo, s94
.LBB0_1826:                             ;   in Loop: Header=BB0_7 Depth=1
	s_delay_alu instid0(SALU_CYCLE_1)
	s_or_b32 exec_lo, exec_lo, s93
.LBB0_1827:                             ;   in Loop: Header=BB0_7 Depth=1
	s_delay_alu instid0(SALU_CYCLE_1)
	s_or_b32 exec_lo, exec_lo, s92
.LBB0_1828:                             ;   in Loop: Header=BB0_7 Depth=1
	s_delay_alu instid0(SALU_CYCLE_1)
	s_or_b32 exec_lo, exec_lo, s91
.LBB0_1829:                             ;   in Loop: Header=BB0_7 Depth=1
	s_delay_alu instid0(SALU_CYCLE_1)
	s_or_b32 exec_lo, exec_lo, s90
.LBB0_1830:                             ;   in Loop: Header=BB0_7 Depth=1
	s_delay_alu instid0(SALU_CYCLE_1)
	s_or_b32 exec_lo, exec_lo, s89
.LBB0_1831:                             ;   in Loop: Header=BB0_7 Depth=1
	s_delay_alu instid0(SALU_CYCLE_1)
	s_or_b32 exec_lo, exec_lo, s88
.LBB0_1832:                             ;   in Loop: Header=BB0_7 Depth=1
	s_delay_alu instid0(SALU_CYCLE_1)
	s_or_b32 exec_lo, exec_lo, s87
.LBB0_1833:                             ;   in Loop: Header=BB0_7 Depth=1
	s_delay_alu instid0(SALU_CYCLE_1)
	s_or_b32 exec_lo, exec_lo, s86
.LBB0_1834:                             ;   in Loop: Header=BB0_7 Depth=1
	s_delay_alu instid0(SALU_CYCLE_1)
	s_or_b32 exec_lo, exec_lo, s85
.LBB0_1835:                             ;   in Loop: Header=BB0_7 Depth=1
	s_delay_alu instid0(SALU_CYCLE_1)
	s_or_b32 exec_lo, exec_lo, s84
.LBB0_1836:                             ;   in Loop: Header=BB0_7 Depth=1
	s_delay_alu instid0(SALU_CYCLE_1)
	s_or_b32 exec_lo, exec_lo, s83
.LBB0_1837:                             ;   in Loop: Header=BB0_7 Depth=1
	s_delay_alu instid0(SALU_CYCLE_1)
	s_or_b32 exec_lo, exec_lo, s82
.LBB0_1838:                             ;   in Loop: Header=BB0_7 Depth=1
	s_delay_alu instid0(SALU_CYCLE_1)
	s_or_b32 exec_lo, exec_lo, s81
.LBB0_1839:                             ;   in Loop: Header=BB0_7 Depth=1
	s_delay_alu instid0(SALU_CYCLE_1) | instskip(SKIP_1) | instid1(SALU_CYCLE_1)
	s_or_b32 exec_lo, exec_lo, s63
	s_or_b32 s63, s33, 17
	v_cmp_ge_u32_e32 vcc_lo, s63, v0
	s_and_saveexec_b32 s63, vcc_lo
	s_delay_alu instid0(SALU_CYCLE_1)
	s_xor_b32 s63, exec_lo, s63
; %bb.1840:                             ;   in Loop: Header=BB0_7 Depth=1
	v_or_b32_e32 v11, 0x7c00, v11
; %bb.1841:                             ;   in Loop: Header=BB0_7 Depth=1
	s_and_not1_saveexec_b32 s63, s63
	s_cbranch_execz .LBB0_1965
; %bb.1842:                             ;   in Loop: Header=BB0_7 Depth=1
	s_add_co_i32 s81, s62, 0
	s_delay_alu instid0(SALU_CYCLE_1)
	v_mov_b32_e32 v1, s81
	s_mov_b32 s81, exec_lo
	ds_load_2addr_b64 v[12:15], v1 offset0:51 offset1:52
	ds_load_b64 v[16:17], v1 offset:424
	s_wait_dscnt 0x1
	v_mul_f64_e32 v[8:9], v[4:5], v[14:15]
	s_delay_alu instid0(VALU_DEP_1) | instskip(SKIP_1) | instid1(VALU_DEP_1)
	v_fmac_f64_e32 v[8:9], v[2:3], v[12:13]
	s_wait_dscnt 0x0
	v_fmac_f64_e32 v[8:9], v[6:7], v[16:17]
	s_delay_alu instid0(VALU_DEP_1)
	v_cmpx_ngt_f64_e32 s[60:61], v[8:9]
	s_xor_b32 s81, exec_lo, s81
	s_cbranch_execz .LBB0_1962
; %bb.1843:                             ;   in Loop: Header=BB0_7 Depth=1
	s_mov_b32 s82, exec_lo
	v_cmpx_ngt_f64_e32 s[66:67], v[8:9]
	s_xor_b32 s82, exec_lo, s82
	s_cbranch_execz .LBB0_1959
; %bb.1844:                             ;   in Loop: Header=BB0_7 Depth=1
	s_mov_b32 s83, exec_lo
	;; [unrolled: 5-line block ×21, first 2 shown]
	v_cmpx_ngt_f64_e32 s[18:19], v[8:9]
	s_xor_b32 s104, exec_lo, s104
	s_cbranch_execz .LBB0_1899
; %bb.1864:                             ;   in Loop: Header=BB0_7 Depth=1
	s_mov_b32 vcc_hi, exec_lo
	v_cmpx_ngt_f64_e32 s[16:17], v[8:9]
	s_xor_b32 vcc_hi, exec_lo, vcc_hi
	s_delay_alu instid0(SALU_CYCLE_1)
	v_writelane_b32 v18, vcc_hi, 0
	s_cbranch_execz .LBB0_1896
; %bb.1865:                             ;   in Loop: Header=BB0_7 Depth=1
	s_mov_b32 vcc_hi, exec_lo
	v_cmpx_ngt_f64_e32 s[50:51], v[8:9]
	s_xor_b32 vcc_hi, exec_lo, vcc_hi
	s_delay_alu instid0(SALU_CYCLE_1)
	v_writelane_b32 v18, vcc_hi, 1
	s_cbranch_execz .LBB0_1893
; %bb.1866:                             ;   in Loop: Header=BB0_7 Depth=1
	s_mov_b32 vcc_hi, exec_lo
	v_cmpx_ngt_f64_e32 s[48:49], v[8:9]
	s_xor_b32 vcc_hi, exec_lo, vcc_hi
	s_delay_alu instid0(SALU_CYCLE_1)
	v_writelane_b32 v18, vcc_hi, 2
	s_cbranch_execz .LBB0_1890
; %bb.1867:                             ;   in Loop: Header=BB0_7 Depth=1
	s_mov_b32 vcc_hi, exec_lo
	v_cmpx_ngt_f64_e32 s[46:47], v[8:9]
	s_xor_b32 vcc_hi, exec_lo, vcc_hi
	s_delay_alu instid0(SALU_CYCLE_1)
	v_writelane_b32 v18, vcc_hi, 3
	s_cbranch_execz .LBB0_1887
; %bb.1868:                             ;   in Loop: Header=BB0_7 Depth=1
	s_mov_b32 vcc_hi, exec_lo
	v_cmpx_ngt_f64_e32 s[44:45], v[8:9]
	s_xor_b32 vcc_hi, exec_lo, vcc_hi
	s_delay_alu instid0(SALU_CYCLE_1)
	v_writelane_b32 v18, vcc_hi, 4
	s_cbranch_execz .LBB0_1884
; %bb.1869:                             ;   in Loop: Header=BB0_7 Depth=1
	s_mov_b32 vcc_hi, exec_lo
	v_cmpx_ngt_f64_e32 s[42:43], v[8:9]
	s_xor_b32 vcc_hi, exec_lo, vcc_hi
	s_delay_alu instid0(SALU_CYCLE_1)
	v_writelane_b32 v18, vcc_hi, 5
	s_cbranch_execz .LBB0_1881
; %bb.1870:                             ;   in Loop: Header=BB0_7 Depth=1
	s_mov_b32 vcc_hi, exec_lo
	v_cmpx_ngt_f64_e32 s[40:41], v[8:9]
	s_xor_b32 vcc_hi, exec_lo, vcc_hi
	s_delay_alu instid0(SALU_CYCLE_1)
	v_writelane_b32 v18, vcc_hi, 6
	s_cbranch_execz .LBB0_1878
; %bb.1871:                             ;   in Loop: Header=BB0_7 Depth=1
	s_mov_b32 vcc_hi, exec_lo
	v_cmpx_ngt_f64_e32 s[38:39], v[8:9]
	s_xor_b32 vcc_hi, exec_lo, vcc_hi
	s_delay_alu instid0(SALU_CYCLE_1)
	v_writelane_b32 v18, vcc_hi, 8
	s_cbranch_execz .LBB0_1875
; %bb.1872:                             ;   in Loop: Header=BB0_7 Depth=1
	s_mov_b32 vcc_lo, exec_lo
	v_cmpx_gt_f64_e32 s[36:37], v[8:9]
; %bb.1873:                             ;   in Loop: Header=BB0_7 Depth=1
	v_or_b32_e32 v11, 0x400, v11
; %bb.1874:                             ;   in Loop: Header=BB0_7 Depth=1
	s_or_b32 exec_lo, exec_lo, vcc_lo
.LBB0_1875:                             ;   in Loop: Header=BB0_7 Depth=1
	s_delay_alu instid0(VALU_DEP_1)
	v_readlane_b32 vcc_lo, v18, 8
	s_and_not1_saveexec_b32 vcc_lo, vcc_lo
; %bb.1876:                             ;   in Loop: Header=BB0_7 Depth=1
	v_or_b32_e32 v11, 0x800, v11
; %bb.1877:                             ;   in Loop: Header=BB0_7 Depth=1
	s_or_b32 exec_lo, exec_lo, vcc_lo
.LBB0_1878:                             ;   in Loop: Header=BB0_7 Depth=1
	s_delay_alu instid0(VALU_DEP_1)
	v_readlane_b32 vcc_lo, v18, 6
	s_and_not1_saveexec_b32 vcc_lo, vcc_lo
; %bb.1879:                             ;   in Loop: Header=BB0_7 Depth=1
	v_or_b32_e32 v11, 0xc00, v11
; %bb.1880:                             ;   in Loop: Header=BB0_7 Depth=1
	s_or_b32 exec_lo, exec_lo, vcc_lo
.LBB0_1881:                             ;   in Loop: Header=BB0_7 Depth=1
	s_delay_alu instid0(VALU_DEP_1)
	v_readlane_b32 vcc_lo, v18, 5
	s_and_not1_saveexec_b32 vcc_lo, vcc_lo
; %bb.1882:                             ;   in Loop: Header=BB0_7 Depth=1
	v_or_b32_e32 v11, 0x1000, v11
; %bb.1883:                             ;   in Loop: Header=BB0_7 Depth=1
	s_or_b32 exec_lo, exec_lo, vcc_lo
.LBB0_1884:                             ;   in Loop: Header=BB0_7 Depth=1
	s_delay_alu instid0(VALU_DEP_1)
	v_readlane_b32 vcc_lo, v18, 4
	s_and_not1_saveexec_b32 vcc_lo, vcc_lo
; %bb.1885:                             ;   in Loop: Header=BB0_7 Depth=1
	v_or_b32_e32 v11, 0x1400, v11
; %bb.1886:                             ;   in Loop: Header=BB0_7 Depth=1
	s_or_b32 exec_lo, exec_lo, vcc_lo
.LBB0_1887:                             ;   in Loop: Header=BB0_7 Depth=1
	s_delay_alu instid0(VALU_DEP_1)
	v_readlane_b32 vcc_lo, v18, 3
	s_and_not1_saveexec_b32 vcc_lo, vcc_lo
; %bb.1888:                             ;   in Loop: Header=BB0_7 Depth=1
	v_or_b32_e32 v11, 0x1800, v11
; %bb.1889:                             ;   in Loop: Header=BB0_7 Depth=1
	s_or_b32 exec_lo, exec_lo, vcc_lo
.LBB0_1890:                             ;   in Loop: Header=BB0_7 Depth=1
	s_delay_alu instid0(VALU_DEP_1)
	v_readlane_b32 vcc_lo, v18, 2
	s_and_not1_saveexec_b32 vcc_lo, vcc_lo
; %bb.1891:                             ;   in Loop: Header=BB0_7 Depth=1
	v_or_b32_e32 v11, 0x1c00, v11
; %bb.1892:                             ;   in Loop: Header=BB0_7 Depth=1
	s_or_b32 exec_lo, exec_lo, vcc_lo
.LBB0_1893:                             ;   in Loop: Header=BB0_7 Depth=1
	s_delay_alu instid0(VALU_DEP_1)
	v_readlane_b32 vcc_lo, v18, 1
	s_and_not1_saveexec_b32 vcc_lo, vcc_lo
; %bb.1894:                             ;   in Loop: Header=BB0_7 Depth=1
	v_or_b32_e32 v11, 0x2000, v11
; %bb.1895:                             ;   in Loop: Header=BB0_7 Depth=1
	s_or_b32 exec_lo, exec_lo, vcc_lo
.LBB0_1896:                             ;   in Loop: Header=BB0_7 Depth=1
	s_delay_alu instid0(VALU_DEP_1)
	v_readlane_b32 vcc_lo, v18, 0
	s_and_not1_saveexec_b32 vcc_lo, vcc_lo
; %bb.1897:                             ;   in Loop: Header=BB0_7 Depth=1
	v_or_b32_e32 v11, 0x2400, v11
; %bb.1898:                             ;   in Loop: Header=BB0_7 Depth=1
	s_or_b32 exec_lo, exec_lo, vcc_lo
.LBB0_1899:                             ;   in Loop: Header=BB0_7 Depth=1
	s_and_not1_saveexec_b32 s104, s104
; %bb.1900:                             ;   in Loop: Header=BB0_7 Depth=1
	s_delay_alu instid0(VALU_DEP_1)
	v_or_b32_e32 v11, 0x2800, v11
; %bb.1901:                             ;   in Loop: Header=BB0_7 Depth=1
	s_or_b32 exec_lo, exec_lo, s104
.LBB0_1902:                             ;   in Loop: Header=BB0_7 Depth=1
	s_and_not1_saveexec_b32 s101, s101
; %bb.1903:                             ;   in Loop: Header=BB0_7 Depth=1
	s_delay_alu instid0(VALU_DEP_1)
	v_or_b32_e32 v11, 0x2c00, v11
; %bb.1904:                             ;   in Loop: Header=BB0_7 Depth=1
	s_or_b32 exec_lo, exec_lo, s101
.LBB0_1905:                             ;   in Loop: Header=BB0_7 Depth=1
	s_and_not1_saveexec_b32 s100, s100
; %bb.1906:                             ;   in Loop: Header=BB0_7 Depth=1
	s_delay_alu instid0(VALU_DEP_1)
	v_or_b32_e32 v11, 0x3000, v11
; %bb.1907:                             ;   in Loop: Header=BB0_7 Depth=1
	s_or_b32 exec_lo, exec_lo, s100
.LBB0_1908:                             ;   in Loop: Header=BB0_7 Depth=1
	s_and_not1_saveexec_b32 s99, s99
; %bb.1909:                             ;   in Loop: Header=BB0_7 Depth=1
	s_delay_alu instid0(VALU_DEP_1)
	v_or_b32_e32 v11, 0x3400, v11
; %bb.1910:                             ;   in Loop: Header=BB0_7 Depth=1
	s_or_b32 exec_lo, exec_lo, s99
.LBB0_1911:                             ;   in Loop: Header=BB0_7 Depth=1
	s_and_not1_saveexec_b32 s98, s98
; %bb.1912:                             ;   in Loop: Header=BB0_7 Depth=1
	s_delay_alu instid0(VALU_DEP_1)
	v_or_b32_e32 v11, 0x3800, v11
; %bb.1913:                             ;   in Loop: Header=BB0_7 Depth=1
	s_or_b32 exec_lo, exec_lo, s98
.LBB0_1914:                             ;   in Loop: Header=BB0_7 Depth=1
	s_and_not1_saveexec_b32 s97, s97
; %bb.1915:                             ;   in Loop: Header=BB0_7 Depth=1
	s_delay_alu instid0(VALU_DEP_1)
	v_or_b32_e32 v11, 0x3c00, v11
; %bb.1916:                             ;   in Loop: Header=BB0_7 Depth=1
	s_or_b32 exec_lo, exec_lo, s97
.LBB0_1917:                             ;   in Loop: Header=BB0_7 Depth=1
	s_and_not1_saveexec_b32 s96, s96
; %bb.1918:                             ;   in Loop: Header=BB0_7 Depth=1
	s_delay_alu instid0(VALU_DEP_1)
	v_or_b32_e32 v11, 0x4000, v11
; %bb.1919:                             ;   in Loop: Header=BB0_7 Depth=1
	s_or_b32 exec_lo, exec_lo, s96
.LBB0_1920:                             ;   in Loop: Header=BB0_7 Depth=1
	s_and_not1_saveexec_b32 s95, s95
; %bb.1921:                             ;   in Loop: Header=BB0_7 Depth=1
	s_delay_alu instid0(VALU_DEP_1)
	v_or_b32_e32 v11, 0x4400, v11
; %bb.1922:                             ;   in Loop: Header=BB0_7 Depth=1
	s_or_b32 exec_lo, exec_lo, s95
.LBB0_1923:                             ;   in Loop: Header=BB0_7 Depth=1
	s_and_not1_saveexec_b32 s94, s94
; %bb.1924:                             ;   in Loop: Header=BB0_7 Depth=1
	s_delay_alu instid0(VALU_DEP_1)
	v_or_b32_e32 v11, 0x4800, v11
; %bb.1925:                             ;   in Loop: Header=BB0_7 Depth=1
	s_or_b32 exec_lo, exec_lo, s94
.LBB0_1926:                             ;   in Loop: Header=BB0_7 Depth=1
	s_and_not1_saveexec_b32 s93, s93
; %bb.1927:                             ;   in Loop: Header=BB0_7 Depth=1
	s_delay_alu instid0(VALU_DEP_1)
	v_or_b32_e32 v11, 0x4c00, v11
; %bb.1928:                             ;   in Loop: Header=BB0_7 Depth=1
	s_or_b32 exec_lo, exec_lo, s93
.LBB0_1929:                             ;   in Loop: Header=BB0_7 Depth=1
	s_and_not1_saveexec_b32 s92, s92
; %bb.1930:                             ;   in Loop: Header=BB0_7 Depth=1
	s_delay_alu instid0(VALU_DEP_1)
	v_or_b32_e32 v11, 0x5000, v11
; %bb.1931:                             ;   in Loop: Header=BB0_7 Depth=1
	s_or_b32 exec_lo, exec_lo, s92
.LBB0_1932:                             ;   in Loop: Header=BB0_7 Depth=1
	s_and_not1_saveexec_b32 s91, s91
; %bb.1933:                             ;   in Loop: Header=BB0_7 Depth=1
	s_delay_alu instid0(VALU_DEP_1)
	v_or_b32_e32 v11, 0x5400, v11
; %bb.1934:                             ;   in Loop: Header=BB0_7 Depth=1
	s_or_b32 exec_lo, exec_lo, s91
.LBB0_1935:                             ;   in Loop: Header=BB0_7 Depth=1
	s_and_not1_saveexec_b32 s90, s90
; %bb.1936:                             ;   in Loop: Header=BB0_7 Depth=1
	s_delay_alu instid0(VALU_DEP_1)
	v_or_b32_e32 v11, 0x5800, v11
; %bb.1937:                             ;   in Loop: Header=BB0_7 Depth=1
	s_or_b32 exec_lo, exec_lo, s90
.LBB0_1938:                             ;   in Loop: Header=BB0_7 Depth=1
	s_and_not1_saveexec_b32 s89, s89
; %bb.1939:                             ;   in Loop: Header=BB0_7 Depth=1
	s_delay_alu instid0(VALU_DEP_1)
	v_or_b32_e32 v11, 0x5c00, v11
; %bb.1940:                             ;   in Loop: Header=BB0_7 Depth=1
	s_or_b32 exec_lo, exec_lo, s89
.LBB0_1941:                             ;   in Loop: Header=BB0_7 Depth=1
	s_and_not1_saveexec_b32 s88, s88
; %bb.1942:                             ;   in Loop: Header=BB0_7 Depth=1
	s_delay_alu instid0(VALU_DEP_1)
	v_or_b32_e32 v11, 0x6000, v11
; %bb.1943:                             ;   in Loop: Header=BB0_7 Depth=1
	s_or_b32 exec_lo, exec_lo, s88
.LBB0_1944:                             ;   in Loop: Header=BB0_7 Depth=1
	s_and_not1_saveexec_b32 s87, s87
; %bb.1945:                             ;   in Loop: Header=BB0_7 Depth=1
	s_delay_alu instid0(VALU_DEP_1)
	v_or_b32_e32 v11, 0x6400, v11
; %bb.1946:                             ;   in Loop: Header=BB0_7 Depth=1
	s_or_b32 exec_lo, exec_lo, s87
.LBB0_1947:                             ;   in Loop: Header=BB0_7 Depth=1
	s_and_not1_saveexec_b32 s86, s86
; %bb.1948:                             ;   in Loop: Header=BB0_7 Depth=1
	s_delay_alu instid0(VALU_DEP_1)
	v_or_b32_e32 v11, 0x6800, v11
; %bb.1949:                             ;   in Loop: Header=BB0_7 Depth=1
	s_or_b32 exec_lo, exec_lo, s86
.LBB0_1950:                             ;   in Loop: Header=BB0_7 Depth=1
	s_and_not1_saveexec_b32 s85, s85
; %bb.1951:                             ;   in Loop: Header=BB0_7 Depth=1
	s_delay_alu instid0(VALU_DEP_1)
	v_or_b32_e32 v11, 0x6c00, v11
; %bb.1952:                             ;   in Loop: Header=BB0_7 Depth=1
	s_or_b32 exec_lo, exec_lo, s85
.LBB0_1953:                             ;   in Loop: Header=BB0_7 Depth=1
	s_and_not1_saveexec_b32 s84, s84
; %bb.1954:                             ;   in Loop: Header=BB0_7 Depth=1
	s_delay_alu instid0(VALU_DEP_1)
	v_or_b32_e32 v11, 0x7000, v11
; %bb.1955:                             ;   in Loop: Header=BB0_7 Depth=1
	s_or_b32 exec_lo, exec_lo, s84
.LBB0_1956:                             ;   in Loop: Header=BB0_7 Depth=1
	s_and_not1_saveexec_b32 s83, s83
; %bb.1957:                             ;   in Loop: Header=BB0_7 Depth=1
	s_delay_alu instid0(VALU_DEP_1)
	v_or_b32_e32 v11, 0x7400, v11
; %bb.1958:                             ;   in Loop: Header=BB0_7 Depth=1
	s_or_b32 exec_lo, exec_lo, s83
.LBB0_1959:                             ;   in Loop: Header=BB0_7 Depth=1
	s_and_not1_saveexec_b32 s82, s82
; %bb.1960:                             ;   in Loop: Header=BB0_7 Depth=1
	s_delay_alu instid0(VALU_DEP_1)
	v_or_b32_e32 v11, 0x7800, v11
; %bb.1961:                             ;   in Loop: Header=BB0_7 Depth=1
	s_or_b32 exec_lo, exec_lo, s82
.LBB0_1962:                             ;   in Loop: Header=BB0_7 Depth=1
	s_and_not1_saveexec_b32 s81, s81
; %bb.1963:                             ;   in Loop: Header=BB0_7 Depth=1
	s_delay_alu instid0(VALU_DEP_1)
	v_or_b32_e32 v11, 0x7c00, v11
; %bb.1964:                             ;   in Loop: Header=BB0_7 Depth=1
	s_or_b32 exec_lo, exec_lo, s81
.LBB0_1965:                             ;   in Loop: Header=BB0_7 Depth=1
	s_delay_alu instid0(SALU_CYCLE_1) | instskip(SKIP_1) | instid1(SALU_CYCLE_1)
	s_or_b32 exec_lo, exec_lo, s63
	s_or_b32 s63, s33, 18
	v_cmp_ge_u32_e32 vcc_lo, s63, v0
	s_and_saveexec_b32 s63, vcc_lo
	s_delay_alu instid0(SALU_CYCLE_1)
	s_xor_b32 s63, exec_lo, s63
; %bb.1966:                             ;   in Loop: Header=BB0_7 Depth=1
	v_add_nc_u32_e32 v11, 0x7c0000, v11
; %bb.1967:                             ;   in Loop: Header=BB0_7 Depth=1
	s_and_not1_saveexec_b32 s63, s63
	s_cbranch_execz .LBB0_2091
; %bb.1968:                             ;   in Loop: Header=BB0_7 Depth=1
	s_add_co_i32 s81, s62, 0
	s_delay_alu instid0(SALU_CYCLE_1)
	v_mov_b32_e32 v1, s81
	s_mov_b32 s81, exec_lo
	ds_load_2addr_b64 v[12:15], v1 offset0:54 offset1:55
	ds_load_b64 v[16:17], v1 offset:448
	s_wait_dscnt 0x1
	v_mul_f64_e32 v[8:9], v[4:5], v[14:15]
	s_delay_alu instid0(VALU_DEP_1) | instskip(SKIP_1) | instid1(VALU_DEP_1)
	v_fmac_f64_e32 v[8:9], v[2:3], v[12:13]
	s_wait_dscnt 0x0
	v_fmac_f64_e32 v[8:9], v[6:7], v[16:17]
	s_delay_alu instid0(VALU_DEP_1)
	v_cmpx_ngt_f64_e32 s[60:61], v[8:9]
	s_xor_b32 s81, exec_lo, s81
	s_cbranch_execz .LBB0_2088
; %bb.1969:                             ;   in Loop: Header=BB0_7 Depth=1
	s_mov_b32 s82, exec_lo
	v_cmpx_ngt_f64_e32 s[66:67], v[8:9]
	s_xor_b32 s82, exec_lo, s82
	s_cbranch_execz .LBB0_2085
; %bb.1970:                             ;   in Loop: Header=BB0_7 Depth=1
	s_mov_b32 s83, exec_lo
	;; [unrolled: 5-line block ×21, first 2 shown]
	v_cmpx_ngt_f64_e32 s[18:19], v[8:9]
	s_xor_b32 s104, exec_lo, s104
	s_cbranch_execz .LBB0_2025
; %bb.1990:                             ;   in Loop: Header=BB0_7 Depth=1
	s_mov_b32 vcc_hi, exec_lo
	v_cmpx_ngt_f64_e32 s[16:17], v[8:9]
	s_xor_b32 vcc_hi, exec_lo, vcc_hi
	s_delay_alu instid0(SALU_CYCLE_1)
	v_writelane_b32 v18, vcc_hi, 0
	s_cbranch_execz .LBB0_2022
; %bb.1991:                             ;   in Loop: Header=BB0_7 Depth=1
	s_mov_b32 vcc_hi, exec_lo
	v_cmpx_ngt_f64_e32 s[50:51], v[8:9]
	s_xor_b32 vcc_hi, exec_lo, vcc_hi
	s_delay_alu instid0(SALU_CYCLE_1)
	v_writelane_b32 v18, vcc_hi, 1
	;; [unrolled: 7-line block ×8, first 2 shown]
	s_cbranch_execz .LBB0_2001
; %bb.1998:                             ;   in Loop: Header=BB0_7 Depth=1
	s_mov_b32 vcc_lo, exec_lo
	v_cmpx_gt_f64_e32 s[36:37], v[8:9]
; %bb.1999:                             ;   in Loop: Header=BB0_7 Depth=1
	v_add_nc_u32_e32 v11, 0x40000, v11
; %bb.2000:                             ;   in Loop: Header=BB0_7 Depth=1
	s_or_b32 exec_lo, exec_lo, vcc_lo
.LBB0_2001:                             ;   in Loop: Header=BB0_7 Depth=1
	s_delay_alu instid0(VALU_DEP_1)
	v_readlane_b32 vcc_lo, v18, 8
	s_and_not1_saveexec_b32 vcc_lo, vcc_lo
; %bb.2002:                             ;   in Loop: Header=BB0_7 Depth=1
	v_add_nc_u32_e32 v11, 0x80000, v11
; %bb.2003:                             ;   in Loop: Header=BB0_7 Depth=1
	s_or_b32 exec_lo, exec_lo, vcc_lo
.LBB0_2004:                             ;   in Loop: Header=BB0_7 Depth=1
	s_delay_alu instid0(VALU_DEP_1)
	v_readlane_b32 vcc_lo, v18, 6
	s_and_not1_saveexec_b32 vcc_lo, vcc_lo
; %bb.2005:                             ;   in Loop: Header=BB0_7 Depth=1
	v_add_nc_u32_e32 v11, 0xc0000, v11
; %bb.2006:                             ;   in Loop: Header=BB0_7 Depth=1
	s_or_b32 exec_lo, exec_lo, vcc_lo
.LBB0_2007:                             ;   in Loop: Header=BB0_7 Depth=1
	s_delay_alu instid0(VALU_DEP_1)
	v_readlane_b32 vcc_lo, v18, 5
	s_and_not1_saveexec_b32 vcc_lo, vcc_lo
; %bb.2008:                             ;   in Loop: Header=BB0_7 Depth=1
	v_add_nc_u32_e32 v11, 0x100000, v11
; %bb.2009:                             ;   in Loop: Header=BB0_7 Depth=1
	s_or_b32 exec_lo, exec_lo, vcc_lo
.LBB0_2010:                             ;   in Loop: Header=BB0_7 Depth=1
	s_delay_alu instid0(VALU_DEP_1)
	v_readlane_b32 vcc_lo, v18, 4
	s_and_not1_saveexec_b32 vcc_lo, vcc_lo
; %bb.2011:                             ;   in Loop: Header=BB0_7 Depth=1
	v_add_nc_u32_e32 v11, 0x140000, v11
; %bb.2012:                             ;   in Loop: Header=BB0_7 Depth=1
	s_or_b32 exec_lo, exec_lo, vcc_lo
.LBB0_2013:                             ;   in Loop: Header=BB0_7 Depth=1
	s_delay_alu instid0(VALU_DEP_1)
	v_readlane_b32 vcc_lo, v18, 3
	s_and_not1_saveexec_b32 vcc_lo, vcc_lo
; %bb.2014:                             ;   in Loop: Header=BB0_7 Depth=1
	v_add_nc_u32_e32 v11, 0x180000, v11
; %bb.2015:                             ;   in Loop: Header=BB0_7 Depth=1
	s_or_b32 exec_lo, exec_lo, vcc_lo
.LBB0_2016:                             ;   in Loop: Header=BB0_7 Depth=1
	s_delay_alu instid0(VALU_DEP_1)
	v_readlane_b32 vcc_lo, v18, 2
	s_and_not1_saveexec_b32 vcc_lo, vcc_lo
; %bb.2017:                             ;   in Loop: Header=BB0_7 Depth=1
	v_add_nc_u32_e32 v11, 0x1c0000, v11
; %bb.2018:                             ;   in Loop: Header=BB0_7 Depth=1
	s_or_b32 exec_lo, exec_lo, vcc_lo
.LBB0_2019:                             ;   in Loop: Header=BB0_7 Depth=1
	s_delay_alu instid0(VALU_DEP_1)
	v_readlane_b32 vcc_lo, v18, 1
	s_and_not1_saveexec_b32 vcc_lo, vcc_lo
; %bb.2020:                             ;   in Loop: Header=BB0_7 Depth=1
	v_add_nc_u32_e32 v11, 0x200000, v11
; %bb.2021:                             ;   in Loop: Header=BB0_7 Depth=1
	s_or_b32 exec_lo, exec_lo, vcc_lo
.LBB0_2022:                             ;   in Loop: Header=BB0_7 Depth=1
	s_delay_alu instid0(VALU_DEP_1)
	v_readlane_b32 vcc_lo, v18, 0
	s_and_not1_saveexec_b32 vcc_lo, vcc_lo
; %bb.2023:                             ;   in Loop: Header=BB0_7 Depth=1
	v_add_nc_u32_e32 v11, 0x240000, v11
; %bb.2024:                             ;   in Loop: Header=BB0_7 Depth=1
	s_or_b32 exec_lo, exec_lo, vcc_lo
.LBB0_2025:                             ;   in Loop: Header=BB0_7 Depth=1
	s_and_not1_saveexec_b32 s104, s104
; %bb.2026:                             ;   in Loop: Header=BB0_7 Depth=1
	s_delay_alu instid0(VALU_DEP_1)
	v_add_nc_u32_e32 v11, 0x280000, v11
; %bb.2027:                             ;   in Loop: Header=BB0_7 Depth=1
	s_or_b32 exec_lo, exec_lo, s104
.LBB0_2028:                             ;   in Loop: Header=BB0_7 Depth=1
	s_and_not1_saveexec_b32 s101, s101
; %bb.2029:                             ;   in Loop: Header=BB0_7 Depth=1
	s_delay_alu instid0(VALU_DEP_1)
	v_add_nc_u32_e32 v11, 0x2c0000, v11
; %bb.2030:                             ;   in Loop: Header=BB0_7 Depth=1
	s_or_b32 exec_lo, exec_lo, s101
.LBB0_2031:                             ;   in Loop: Header=BB0_7 Depth=1
	s_and_not1_saveexec_b32 s100, s100
; %bb.2032:                             ;   in Loop: Header=BB0_7 Depth=1
	s_delay_alu instid0(VALU_DEP_1)
	v_add_nc_u32_e32 v11, 0x300000, v11
; %bb.2033:                             ;   in Loop: Header=BB0_7 Depth=1
	s_or_b32 exec_lo, exec_lo, s100
.LBB0_2034:                             ;   in Loop: Header=BB0_7 Depth=1
	s_and_not1_saveexec_b32 s99, s99
; %bb.2035:                             ;   in Loop: Header=BB0_7 Depth=1
	s_delay_alu instid0(VALU_DEP_1)
	v_add_nc_u32_e32 v11, 0x340000, v11
; %bb.2036:                             ;   in Loop: Header=BB0_7 Depth=1
	s_or_b32 exec_lo, exec_lo, s99
.LBB0_2037:                             ;   in Loop: Header=BB0_7 Depth=1
	s_and_not1_saveexec_b32 s98, s98
; %bb.2038:                             ;   in Loop: Header=BB0_7 Depth=1
	s_delay_alu instid0(VALU_DEP_1)
	v_add_nc_u32_e32 v11, 0x380000, v11
; %bb.2039:                             ;   in Loop: Header=BB0_7 Depth=1
	s_or_b32 exec_lo, exec_lo, s98
.LBB0_2040:                             ;   in Loop: Header=BB0_7 Depth=1
	s_and_not1_saveexec_b32 s97, s97
; %bb.2041:                             ;   in Loop: Header=BB0_7 Depth=1
	s_delay_alu instid0(VALU_DEP_1)
	v_add_nc_u32_e32 v11, 0x3c0000, v11
; %bb.2042:                             ;   in Loop: Header=BB0_7 Depth=1
	s_or_b32 exec_lo, exec_lo, s97
.LBB0_2043:                             ;   in Loop: Header=BB0_7 Depth=1
	s_and_not1_saveexec_b32 s96, s96
; %bb.2044:                             ;   in Loop: Header=BB0_7 Depth=1
	s_delay_alu instid0(VALU_DEP_1)
	v_add_nc_u32_e32 v11, 0x400000, v11
; %bb.2045:                             ;   in Loop: Header=BB0_7 Depth=1
	s_or_b32 exec_lo, exec_lo, s96
.LBB0_2046:                             ;   in Loop: Header=BB0_7 Depth=1
	s_and_not1_saveexec_b32 s95, s95
; %bb.2047:                             ;   in Loop: Header=BB0_7 Depth=1
	s_delay_alu instid0(VALU_DEP_1)
	v_add_nc_u32_e32 v11, 0x440000, v11
; %bb.2048:                             ;   in Loop: Header=BB0_7 Depth=1
	s_or_b32 exec_lo, exec_lo, s95
.LBB0_2049:                             ;   in Loop: Header=BB0_7 Depth=1
	s_and_not1_saveexec_b32 s94, s94
; %bb.2050:                             ;   in Loop: Header=BB0_7 Depth=1
	s_delay_alu instid0(VALU_DEP_1)
	v_add_nc_u32_e32 v11, 0x480000, v11
; %bb.2051:                             ;   in Loop: Header=BB0_7 Depth=1
	s_or_b32 exec_lo, exec_lo, s94
.LBB0_2052:                             ;   in Loop: Header=BB0_7 Depth=1
	s_and_not1_saveexec_b32 s93, s93
; %bb.2053:                             ;   in Loop: Header=BB0_7 Depth=1
	s_delay_alu instid0(VALU_DEP_1)
	v_add_nc_u32_e32 v11, 0x4c0000, v11
; %bb.2054:                             ;   in Loop: Header=BB0_7 Depth=1
	s_or_b32 exec_lo, exec_lo, s93
.LBB0_2055:                             ;   in Loop: Header=BB0_7 Depth=1
	s_and_not1_saveexec_b32 s92, s92
; %bb.2056:                             ;   in Loop: Header=BB0_7 Depth=1
	s_delay_alu instid0(VALU_DEP_1)
	v_add_nc_u32_e32 v11, 0x500000, v11
; %bb.2057:                             ;   in Loop: Header=BB0_7 Depth=1
	s_or_b32 exec_lo, exec_lo, s92
.LBB0_2058:                             ;   in Loop: Header=BB0_7 Depth=1
	s_and_not1_saveexec_b32 s91, s91
; %bb.2059:                             ;   in Loop: Header=BB0_7 Depth=1
	s_delay_alu instid0(VALU_DEP_1)
	v_add_nc_u32_e32 v11, 0x540000, v11
; %bb.2060:                             ;   in Loop: Header=BB0_7 Depth=1
	s_or_b32 exec_lo, exec_lo, s91
.LBB0_2061:                             ;   in Loop: Header=BB0_7 Depth=1
	s_and_not1_saveexec_b32 s90, s90
; %bb.2062:                             ;   in Loop: Header=BB0_7 Depth=1
	s_delay_alu instid0(VALU_DEP_1)
	v_add_nc_u32_e32 v11, 0x580000, v11
; %bb.2063:                             ;   in Loop: Header=BB0_7 Depth=1
	s_or_b32 exec_lo, exec_lo, s90
.LBB0_2064:                             ;   in Loop: Header=BB0_7 Depth=1
	s_and_not1_saveexec_b32 s89, s89
; %bb.2065:                             ;   in Loop: Header=BB0_7 Depth=1
	s_delay_alu instid0(VALU_DEP_1)
	v_add_nc_u32_e32 v11, 0x5c0000, v11
; %bb.2066:                             ;   in Loop: Header=BB0_7 Depth=1
	s_or_b32 exec_lo, exec_lo, s89
.LBB0_2067:                             ;   in Loop: Header=BB0_7 Depth=1
	s_and_not1_saveexec_b32 s88, s88
; %bb.2068:                             ;   in Loop: Header=BB0_7 Depth=1
	s_delay_alu instid0(VALU_DEP_1)
	v_add_nc_u32_e32 v11, 0x600000, v11
; %bb.2069:                             ;   in Loop: Header=BB0_7 Depth=1
	s_or_b32 exec_lo, exec_lo, s88
.LBB0_2070:                             ;   in Loop: Header=BB0_7 Depth=1
	s_and_not1_saveexec_b32 s87, s87
; %bb.2071:                             ;   in Loop: Header=BB0_7 Depth=1
	s_delay_alu instid0(VALU_DEP_1)
	v_add_nc_u32_e32 v11, 0x640000, v11
; %bb.2072:                             ;   in Loop: Header=BB0_7 Depth=1
	s_or_b32 exec_lo, exec_lo, s87
.LBB0_2073:                             ;   in Loop: Header=BB0_7 Depth=1
	s_and_not1_saveexec_b32 s86, s86
; %bb.2074:                             ;   in Loop: Header=BB0_7 Depth=1
	s_delay_alu instid0(VALU_DEP_1)
	v_add_nc_u32_e32 v11, 0x680000, v11
; %bb.2075:                             ;   in Loop: Header=BB0_7 Depth=1
	s_or_b32 exec_lo, exec_lo, s86
.LBB0_2076:                             ;   in Loop: Header=BB0_7 Depth=1
	s_and_not1_saveexec_b32 s85, s85
; %bb.2077:                             ;   in Loop: Header=BB0_7 Depth=1
	s_delay_alu instid0(VALU_DEP_1)
	v_add_nc_u32_e32 v11, 0x6c0000, v11
; %bb.2078:                             ;   in Loop: Header=BB0_7 Depth=1
	s_or_b32 exec_lo, exec_lo, s85
.LBB0_2079:                             ;   in Loop: Header=BB0_7 Depth=1
	s_and_not1_saveexec_b32 s84, s84
; %bb.2080:                             ;   in Loop: Header=BB0_7 Depth=1
	s_delay_alu instid0(VALU_DEP_1)
	v_add_nc_u32_e32 v11, 0x700000, v11
; %bb.2081:                             ;   in Loop: Header=BB0_7 Depth=1
	s_or_b32 exec_lo, exec_lo, s84
.LBB0_2082:                             ;   in Loop: Header=BB0_7 Depth=1
	s_and_not1_saveexec_b32 s83, s83
; %bb.2083:                             ;   in Loop: Header=BB0_7 Depth=1
	s_delay_alu instid0(VALU_DEP_1)
	v_add_nc_u32_e32 v11, 0x740000, v11
; %bb.2084:                             ;   in Loop: Header=BB0_7 Depth=1
	s_or_b32 exec_lo, exec_lo, s83
.LBB0_2085:                             ;   in Loop: Header=BB0_7 Depth=1
	s_and_not1_saveexec_b32 s82, s82
; %bb.2086:                             ;   in Loop: Header=BB0_7 Depth=1
	s_delay_alu instid0(VALU_DEP_1)
	v_add_nc_u32_e32 v11, 0x780000, v11
; %bb.2087:                             ;   in Loop: Header=BB0_7 Depth=1
	s_or_b32 exec_lo, exec_lo, s82
.LBB0_2088:                             ;   in Loop: Header=BB0_7 Depth=1
	s_and_not1_saveexec_b32 s81, s81
; %bb.2089:                             ;   in Loop: Header=BB0_7 Depth=1
	s_delay_alu instid0(VALU_DEP_1)
	v_add_nc_u32_e32 v11, 0x7c0000, v11
; %bb.2090:                             ;   in Loop: Header=BB0_7 Depth=1
	s_or_b32 exec_lo, exec_lo, s81
.LBB0_2091:                             ;   in Loop: Header=BB0_7 Depth=1
	s_delay_alu instid0(SALU_CYCLE_1) | instskip(SKIP_1) | instid1(SALU_CYCLE_1)
	s_or_b32 exec_lo, exec_lo, s63
	s_or_b32 s63, s33, 19
	v_cmp_ge_u32_e32 vcc_lo, s63, v0
	s_and_saveexec_b32 s63, vcc_lo
	s_delay_alu instid0(SALU_CYCLE_1)
	s_xor_b32 s63, exec_lo, s63
; %bb.2092:                             ;   in Loop: Header=BB0_7 Depth=1
	v_add_nc_u32_e32 v11, 0x7c000000, v11
; %bb.2093:                             ;   in Loop: Header=BB0_7 Depth=1
	s_and_not1_saveexec_b32 s63, s63
	s_cbranch_execz .LBB0_2217
; %bb.2094:                             ;   in Loop: Header=BB0_7 Depth=1
	s_add_co_i32 s81, s62, 0
	s_delay_alu instid0(SALU_CYCLE_1)
	v_mov_b32_e32 v1, s81
	s_mov_b32 s81, exec_lo
	ds_load_2addr_b64 v[12:15], v1 offset0:57 offset1:58
	ds_load_b64 v[16:17], v1 offset:472
	s_wait_dscnt 0x1
	v_mul_f64_e32 v[8:9], v[4:5], v[14:15]
	s_delay_alu instid0(VALU_DEP_1) | instskip(SKIP_1) | instid1(VALU_DEP_1)
	v_fmac_f64_e32 v[8:9], v[2:3], v[12:13]
	s_wait_dscnt 0x0
	v_fmac_f64_e32 v[8:9], v[6:7], v[16:17]
	s_delay_alu instid0(VALU_DEP_1)
	v_cmpx_ngt_f64_e32 s[60:61], v[8:9]
	s_xor_b32 s81, exec_lo, s81
	s_cbranch_execz .LBB0_2214
; %bb.2095:                             ;   in Loop: Header=BB0_7 Depth=1
	s_mov_b32 s82, exec_lo
	v_cmpx_ngt_f64_e32 s[66:67], v[8:9]
	s_xor_b32 s82, exec_lo, s82
	s_cbranch_execz .LBB0_2211
; %bb.2096:                             ;   in Loop: Header=BB0_7 Depth=1
	s_mov_b32 s83, exec_lo
	;; [unrolled: 5-line block ×21, first 2 shown]
	v_cmpx_ngt_f64_e32 s[18:19], v[8:9]
	s_xor_b32 s104, exec_lo, s104
	s_cbranch_execz .LBB0_2151
; %bb.2116:                             ;   in Loop: Header=BB0_7 Depth=1
	s_mov_b32 vcc_hi, exec_lo
	v_cmpx_ngt_f64_e32 s[16:17], v[8:9]
	s_xor_b32 vcc_hi, exec_lo, vcc_hi
	s_delay_alu instid0(SALU_CYCLE_1)
	v_writelane_b32 v18, vcc_hi, 0
	s_cbranch_execz .LBB0_2148
; %bb.2117:                             ;   in Loop: Header=BB0_7 Depth=1
	s_mov_b32 vcc_hi, exec_lo
	v_cmpx_ngt_f64_e32 s[50:51], v[8:9]
	s_xor_b32 vcc_hi, exec_lo, vcc_hi
	s_delay_alu instid0(SALU_CYCLE_1)
	v_writelane_b32 v18, vcc_hi, 1
	;; [unrolled: 7-line block ×8, first 2 shown]
	s_cbranch_execz .LBB0_2127
; %bb.2124:                             ;   in Loop: Header=BB0_7 Depth=1
	s_mov_b32 vcc_lo, exec_lo
	v_cmpx_gt_f64_e32 s[36:37], v[8:9]
; %bb.2125:                             ;   in Loop: Header=BB0_7 Depth=1
	v_add_nc_u32_e32 v11, 0x4000000, v11
; %bb.2126:                             ;   in Loop: Header=BB0_7 Depth=1
	s_or_b32 exec_lo, exec_lo, vcc_lo
.LBB0_2127:                             ;   in Loop: Header=BB0_7 Depth=1
	s_delay_alu instid0(VALU_DEP_1)
	v_readlane_b32 vcc_lo, v18, 8
	s_and_not1_saveexec_b32 vcc_lo, vcc_lo
; %bb.2128:                             ;   in Loop: Header=BB0_7 Depth=1
	v_add_nc_u32_e32 v11, 0x8000000, v11
; %bb.2129:                             ;   in Loop: Header=BB0_7 Depth=1
	s_or_b32 exec_lo, exec_lo, vcc_lo
.LBB0_2130:                             ;   in Loop: Header=BB0_7 Depth=1
	s_delay_alu instid0(VALU_DEP_1)
	v_readlane_b32 vcc_lo, v18, 6
	s_and_not1_saveexec_b32 vcc_lo, vcc_lo
; %bb.2131:                             ;   in Loop: Header=BB0_7 Depth=1
	v_add_nc_u32_e32 v11, 0xc000000, v11
; %bb.2132:                             ;   in Loop: Header=BB0_7 Depth=1
	s_or_b32 exec_lo, exec_lo, vcc_lo
.LBB0_2133:                             ;   in Loop: Header=BB0_7 Depth=1
	s_delay_alu instid0(VALU_DEP_1)
	v_readlane_b32 vcc_lo, v18, 5
	s_and_not1_saveexec_b32 vcc_lo, vcc_lo
; %bb.2134:                             ;   in Loop: Header=BB0_7 Depth=1
	v_add_nc_u32_e32 v11, 0x10000000, v11
; %bb.2135:                             ;   in Loop: Header=BB0_7 Depth=1
	s_or_b32 exec_lo, exec_lo, vcc_lo
.LBB0_2136:                             ;   in Loop: Header=BB0_7 Depth=1
	s_delay_alu instid0(VALU_DEP_1)
	v_readlane_b32 vcc_lo, v18, 4
	s_and_not1_saveexec_b32 vcc_lo, vcc_lo
; %bb.2137:                             ;   in Loop: Header=BB0_7 Depth=1
	v_add_nc_u32_e32 v11, 0x14000000, v11
; %bb.2138:                             ;   in Loop: Header=BB0_7 Depth=1
	s_or_b32 exec_lo, exec_lo, vcc_lo
.LBB0_2139:                             ;   in Loop: Header=BB0_7 Depth=1
	s_delay_alu instid0(VALU_DEP_1)
	v_readlane_b32 vcc_lo, v18, 3
	s_and_not1_saveexec_b32 vcc_lo, vcc_lo
; %bb.2140:                             ;   in Loop: Header=BB0_7 Depth=1
	v_add_nc_u32_e32 v11, 0x18000000, v11
; %bb.2141:                             ;   in Loop: Header=BB0_7 Depth=1
	s_or_b32 exec_lo, exec_lo, vcc_lo
.LBB0_2142:                             ;   in Loop: Header=BB0_7 Depth=1
	s_delay_alu instid0(VALU_DEP_1)
	v_readlane_b32 vcc_lo, v18, 2
	s_and_not1_saveexec_b32 vcc_lo, vcc_lo
; %bb.2143:                             ;   in Loop: Header=BB0_7 Depth=1
	v_add_nc_u32_e32 v11, 0x1c000000, v11
; %bb.2144:                             ;   in Loop: Header=BB0_7 Depth=1
	s_or_b32 exec_lo, exec_lo, vcc_lo
.LBB0_2145:                             ;   in Loop: Header=BB0_7 Depth=1
	s_delay_alu instid0(VALU_DEP_1)
	v_readlane_b32 vcc_lo, v18, 1
	s_and_not1_saveexec_b32 vcc_lo, vcc_lo
; %bb.2146:                             ;   in Loop: Header=BB0_7 Depth=1
	v_add_nc_u32_e32 v11, 0x20000000, v11
; %bb.2147:                             ;   in Loop: Header=BB0_7 Depth=1
	s_or_b32 exec_lo, exec_lo, vcc_lo
.LBB0_2148:                             ;   in Loop: Header=BB0_7 Depth=1
	s_delay_alu instid0(VALU_DEP_1)
	v_readlane_b32 vcc_lo, v18, 0
	s_and_not1_saveexec_b32 vcc_lo, vcc_lo
; %bb.2149:                             ;   in Loop: Header=BB0_7 Depth=1
	v_add_nc_u32_e32 v11, 0x24000000, v11
; %bb.2150:                             ;   in Loop: Header=BB0_7 Depth=1
	s_or_b32 exec_lo, exec_lo, vcc_lo
.LBB0_2151:                             ;   in Loop: Header=BB0_7 Depth=1
	s_and_not1_saveexec_b32 s104, s104
; %bb.2152:                             ;   in Loop: Header=BB0_7 Depth=1
	s_delay_alu instid0(VALU_DEP_1)
	v_add_nc_u32_e32 v11, 0x28000000, v11
; %bb.2153:                             ;   in Loop: Header=BB0_7 Depth=1
	s_or_b32 exec_lo, exec_lo, s104
.LBB0_2154:                             ;   in Loop: Header=BB0_7 Depth=1
	s_and_not1_saveexec_b32 s101, s101
; %bb.2155:                             ;   in Loop: Header=BB0_7 Depth=1
	s_delay_alu instid0(VALU_DEP_1)
	v_add_nc_u32_e32 v11, 0x2c000000, v11
; %bb.2156:                             ;   in Loop: Header=BB0_7 Depth=1
	s_or_b32 exec_lo, exec_lo, s101
.LBB0_2157:                             ;   in Loop: Header=BB0_7 Depth=1
	s_and_not1_saveexec_b32 s100, s100
; %bb.2158:                             ;   in Loop: Header=BB0_7 Depth=1
	s_delay_alu instid0(VALU_DEP_1)
	v_add_nc_u32_e32 v11, 0x30000000, v11
; %bb.2159:                             ;   in Loop: Header=BB0_7 Depth=1
	s_or_b32 exec_lo, exec_lo, s100
.LBB0_2160:                             ;   in Loop: Header=BB0_7 Depth=1
	s_and_not1_saveexec_b32 s99, s99
; %bb.2161:                             ;   in Loop: Header=BB0_7 Depth=1
	s_delay_alu instid0(VALU_DEP_1)
	v_add_nc_u32_e32 v11, 0x34000000, v11
; %bb.2162:                             ;   in Loop: Header=BB0_7 Depth=1
	s_or_b32 exec_lo, exec_lo, s99
.LBB0_2163:                             ;   in Loop: Header=BB0_7 Depth=1
	s_and_not1_saveexec_b32 s98, s98
; %bb.2164:                             ;   in Loop: Header=BB0_7 Depth=1
	s_delay_alu instid0(VALU_DEP_1)
	v_add_nc_u32_e32 v11, 0x38000000, v11
; %bb.2165:                             ;   in Loop: Header=BB0_7 Depth=1
	s_or_b32 exec_lo, exec_lo, s98
.LBB0_2166:                             ;   in Loop: Header=BB0_7 Depth=1
	s_and_not1_saveexec_b32 s97, s97
; %bb.2167:                             ;   in Loop: Header=BB0_7 Depth=1
	s_delay_alu instid0(VALU_DEP_1)
	v_add_nc_u32_e32 v11, 0x3c000000, v11
; %bb.2168:                             ;   in Loop: Header=BB0_7 Depth=1
	s_or_b32 exec_lo, exec_lo, s97
.LBB0_2169:                             ;   in Loop: Header=BB0_7 Depth=1
	s_and_not1_saveexec_b32 s96, s96
; %bb.2170:                             ;   in Loop: Header=BB0_7 Depth=1
	s_delay_alu instid0(VALU_DEP_1)
	v_add_nc_u32_e32 v11, 2.0, v11
; %bb.2171:                             ;   in Loop: Header=BB0_7 Depth=1
	s_or_b32 exec_lo, exec_lo, s96
.LBB0_2172:                             ;   in Loop: Header=BB0_7 Depth=1
	s_and_not1_saveexec_b32 s95, s95
; %bb.2173:                             ;   in Loop: Header=BB0_7 Depth=1
	s_delay_alu instid0(VALU_DEP_1)
	v_add_nc_u32_e32 v11, 0x44000000, v11
; %bb.2174:                             ;   in Loop: Header=BB0_7 Depth=1
	s_or_b32 exec_lo, exec_lo, s95
.LBB0_2175:                             ;   in Loop: Header=BB0_7 Depth=1
	s_and_not1_saveexec_b32 s94, s94
; %bb.2176:                             ;   in Loop: Header=BB0_7 Depth=1
	s_delay_alu instid0(VALU_DEP_1)
	v_add_nc_u32_e32 v11, 0x48000000, v11
; %bb.2177:                             ;   in Loop: Header=BB0_7 Depth=1
	s_or_b32 exec_lo, exec_lo, s94
.LBB0_2178:                             ;   in Loop: Header=BB0_7 Depth=1
	s_and_not1_saveexec_b32 s93, s93
; %bb.2179:                             ;   in Loop: Header=BB0_7 Depth=1
	s_delay_alu instid0(VALU_DEP_1)
	v_add_nc_u32_e32 v11, 0x4c000000, v11
; %bb.2180:                             ;   in Loop: Header=BB0_7 Depth=1
	s_or_b32 exec_lo, exec_lo, s93
.LBB0_2181:                             ;   in Loop: Header=BB0_7 Depth=1
	s_and_not1_saveexec_b32 s92, s92
; %bb.2182:                             ;   in Loop: Header=BB0_7 Depth=1
	s_delay_alu instid0(VALU_DEP_1)
	v_add_nc_u32_e32 v11, 0x50000000, v11
; %bb.2183:                             ;   in Loop: Header=BB0_7 Depth=1
	s_or_b32 exec_lo, exec_lo, s92
.LBB0_2184:                             ;   in Loop: Header=BB0_7 Depth=1
	s_and_not1_saveexec_b32 s91, s91
; %bb.2185:                             ;   in Loop: Header=BB0_7 Depth=1
	s_delay_alu instid0(VALU_DEP_1)
	v_add_nc_u32_e32 v11, 0x54000000, v11
; %bb.2186:                             ;   in Loop: Header=BB0_7 Depth=1
	s_or_b32 exec_lo, exec_lo, s91
.LBB0_2187:                             ;   in Loop: Header=BB0_7 Depth=1
	s_and_not1_saveexec_b32 s90, s90
; %bb.2188:                             ;   in Loop: Header=BB0_7 Depth=1
	s_delay_alu instid0(VALU_DEP_1)
	v_add_nc_u32_e32 v11, 0x58000000, v11
; %bb.2189:                             ;   in Loop: Header=BB0_7 Depth=1
	s_or_b32 exec_lo, exec_lo, s90
.LBB0_2190:                             ;   in Loop: Header=BB0_7 Depth=1
	s_and_not1_saveexec_b32 s89, s89
; %bb.2191:                             ;   in Loop: Header=BB0_7 Depth=1
	s_delay_alu instid0(VALU_DEP_1)
	v_add_nc_u32_e32 v11, 0x5c000000, v11
; %bb.2192:                             ;   in Loop: Header=BB0_7 Depth=1
	s_or_b32 exec_lo, exec_lo, s89
.LBB0_2193:                             ;   in Loop: Header=BB0_7 Depth=1
	s_and_not1_saveexec_b32 s88, s88
; %bb.2194:                             ;   in Loop: Header=BB0_7 Depth=1
	s_delay_alu instid0(VALU_DEP_1)
	v_add_nc_u32_e32 v11, 0x60000000, v11
; %bb.2195:                             ;   in Loop: Header=BB0_7 Depth=1
	s_or_b32 exec_lo, exec_lo, s88
.LBB0_2196:                             ;   in Loop: Header=BB0_7 Depth=1
	s_and_not1_saveexec_b32 s87, s87
; %bb.2197:                             ;   in Loop: Header=BB0_7 Depth=1
	s_delay_alu instid0(VALU_DEP_1)
	v_add_nc_u32_e32 v11, 0x64000000, v11
; %bb.2198:                             ;   in Loop: Header=BB0_7 Depth=1
	s_or_b32 exec_lo, exec_lo, s87
.LBB0_2199:                             ;   in Loop: Header=BB0_7 Depth=1
	s_and_not1_saveexec_b32 s86, s86
; %bb.2200:                             ;   in Loop: Header=BB0_7 Depth=1
	s_delay_alu instid0(VALU_DEP_1)
	v_add_nc_u32_e32 v11, 0x68000000, v11
; %bb.2201:                             ;   in Loop: Header=BB0_7 Depth=1
	s_or_b32 exec_lo, exec_lo, s86
.LBB0_2202:                             ;   in Loop: Header=BB0_7 Depth=1
	s_and_not1_saveexec_b32 s85, s85
; %bb.2203:                             ;   in Loop: Header=BB0_7 Depth=1
	s_delay_alu instid0(VALU_DEP_1)
	v_add_nc_u32_e32 v11, 0x6c000000, v11
; %bb.2204:                             ;   in Loop: Header=BB0_7 Depth=1
	s_or_b32 exec_lo, exec_lo, s85
.LBB0_2205:                             ;   in Loop: Header=BB0_7 Depth=1
	s_and_not1_saveexec_b32 s84, s84
; %bb.2206:                             ;   in Loop: Header=BB0_7 Depth=1
	s_delay_alu instid0(VALU_DEP_1)
	v_add_nc_u32_e32 v11, 0x70000000, v11
; %bb.2207:                             ;   in Loop: Header=BB0_7 Depth=1
	s_or_b32 exec_lo, exec_lo, s84
.LBB0_2208:                             ;   in Loop: Header=BB0_7 Depth=1
	s_and_not1_saveexec_b32 s83, s83
; %bb.2209:                             ;   in Loop: Header=BB0_7 Depth=1
	s_delay_alu instid0(VALU_DEP_1)
	v_add_nc_u32_e32 v11, 0x74000000, v11
; %bb.2210:                             ;   in Loop: Header=BB0_7 Depth=1
	s_or_b32 exec_lo, exec_lo, s83
.LBB0_2211:                             ;   in Loop: Header=BB0_7 Depth=1
	s_and_not1_saveexec_b32 s82, s82
; %bb.2212:                             ;   in Loop: Header=BB0_7 Depth=1
	s_delay_alu instid0(VALU_DEP_1)
	v_add_nc_u32_e32 v11, 0x78000000, v11
; %bb.2213:                             ;   in Loop: Header=BB0_7 Depth=1
	s_or_b32 exec_lo, exec_lo, s82
.LBB0_2214:                             ;   in Loop: Header=BB0_7 Depth=1
	s_and_not1_saveexec_b32 s81, s81
; %bb.2215:                             ;   in Loop: Header=BB0_7 Depth=1
	s_delay_alu instid0(VALU_DEP_1)
	v_add_nc_u32_e32 v11, 0x7c000000, v11
; %bb.2216:                             ;   in Loop: Header=BB0_7 Depth=1
	s_or_b32 exec_lo, exec_lo, s81
.LBB0_2217:                             ;   in Loop: Header=BB0_7 Depth=1
	s_delay_alu instid0(SALU_CYCLE_1)
	s_or_b32 exec_lo, exec_lo, s63
	v_lshl_add_u32 v8, s80, 12, v10
	v_mov_b32_e32 v1, 0x7c
	s_or_b32 s63, s33, 20
	s_mov_b32 s80, exec_lo
	global_store_b32 v8, v11, s[34:35] scale_offset
	s_wait_xcnt 0x0
	v_cmpx_lt_u32_e64 s63, v0
	s_cbranch_execz .LBB0_2281
; %bb.2218:                             ;   in Loop: Header=BB0_7 Depth=1
	s_add_co_i32 s81, s62, 0
	s_delay_alu instid0(SALU_CYCLE_1)
	v_mov_b32_e32 v1, s81
	s_mov_b32 s81, exec_lo
	ds_load_2addr_b64 v[12:15], v1 offset0:60 offset1:61
	ds_load_b64 v[16:17], v1 offset:496
	v_mov_b32_e32 v1, 0x7c
	s_wait_dscnt 0x1
	v_mul_f64_e32 v[8:9], v[4:5], v[14:15]
	s_delay_alu instid0(VALU_DEP_1) | instskip(SKIP_1) | instid1(VALU_DEP_1)
	v_fmac_f64_e32 v[8:9], v[2:3], v[12:13]
	s_wait_dscnt 0x0
	v_fmac_f64_e32 v[8:9], v[6:7], v[16:17]
	s_delay_alu instid0(VALU_DEP_1)
	v_cmpx_ngt_f64_e32 s[60:61], v[8:9]
	s_cbranch_execz .LBB0_2280
; %bb.2219:                             ;   in Loop: Header=BB0_7 Depth=1
	v_mov_b32_e32 v1, 0x78
	s_mov_b32 s82, exec_lo
	v_cmpx_ngt_f64_e32 s[66:67], v[8:9]
	s_cbranch_execz .LBB0_2279
; %bb.2220:                             ;   in Loop: Header=BB0_7 Depth=1
	v_mov_b32_e32 v1, 0x74
	s_mov_b32 s83, exec_lo
	;; [unrolled: 5-line block ×21, first 2 shown]
	v_cmpx_ngt_f64_e32 s[18:19], v[8:9]
	s_cbranch_execz .LBB0_2259
; %bb.2240:                             ;   in Loop: Header=BB0_7 Depth=1
	v_mov_b32_e32 v1, 36
	v_cmp_ngt_f64_e32 vcc_lo, s[16:17], v[8:9]
	s_mov_b32 vcc_hi, exec_lo
	s_delay_alu instid0(SALU_CYCLE_1)
	s_and_b32 vcc_lo, vcc_hi, vcc_lo
	v_writelane_b32 v18, vcc_hi, 0
	s_mov_b32 exec_lo, vcc_lo
	s_cbranch_execz .LBB0_2258
; %bb.2241:                             ;   in Loop: Header=BB0_7 Depth=1
	v_mov_b32_e32 v1, 32
	v_cmp_ngt_f64_e32 vcc_lo, s[50:51], v[8:9]
	s_mov_b32 vcc_hi, exec_lo
	s_delay_alu instid0(SALU_CYCLE_1)
	s_and_b32 vcc_lo, vcc_hi, vcc_lo
	v_writelane_b32 v18, vcc_hi, 1
	s_mov_b32 exec_lo, vcc_lo
	;; [unrolled: 9-line block ×8, first 2 shown]
	s_cbranch_execz .LBB0_2251
; %bb.2248:                             ;   in Loop: Header=BB0_7 Depth=1
	v_mov_b32_e32 v1, 0
	s_mov_b32 vcc_hi, exec_lo
	v_cmpx_gt_f64_e32 s[36:37], v[8:9]
; %bb.2249:                             ;   in Loop: Header=BB0_7 Depth=1
	v_mov_b32_e32 v1, 4
; %bb.2250:                             ;   in Loop: Header=BB0_7 Depth=1
	s_or_b32 exec_lo, exec_lo, vcc_hi
.LBB0_2251:                             ;   in Loop: Header=BB0_7 Depth=1
	s_delay_alu instid0(VALU_DEP_1)
	v_readlane_b32 vcc_lo, v18, 8
	s_or_b32 exec_lo, exec_lo, vcc_lo
.LBB0_2252:                             ;   in Loop: Header=BB0_7 Depth=1
	s_delay_alu instid0(VALU_DEP_1)
	v_readlane_b32 vcc_lo, v18, 6
	s_or_b32 exec_lo, exec_lo, vcc_lo
.LBB0_2253:                             ;   in Loop: Header=BB0_7 Depth=1
	s_delay_alu instid0(VALU_DEP_1)
	v_readlane_b32 vcc_lo, v18, 5
	s_or_b32 exec_lo, exec_lo, vcc_lo
.LBB0_2254:                             ;   in Loop: Header=BB0_7 Depth=1
	s_delay_alu instid0(VALU_DEP_1)
	v_readlane_b32 vcc_lo, v18, 4
	s_or_b32 exec_lo, exec_lo, vcc_lo
.LBB0_2255:                             ;   in Loop: Header=BB0_7 Depth=1
	s_delay_alu instid0(VALU_DEP_1)
	v_readlane_b32 vcc_lo, v18, 3
	s_or_b32 exec_lo, exec_lo, vcc_lo
.LBB0_2256:                             ;   in Loop: Header=BB0_7 Depth=1
	s_delay_alu instid0(VALU_DEP_1)
	v_readlane_b32 vcc_lo, v18, 2
	s_or_b32 exec_lo, exec_lo, vcc_lo
.LBB0_2257:                             ;   in Loop: Header=BB0_7 Depth=1
	s_delay_alu instid0(VALU_DEP_1)
	v_readlane_b32 vcc_lo, v18, 1
	s_or_b32 exec_lo, exec_lo, vcc_lo
.LBB0_2258:                             ;   in Loop: Header=BB0_7 Depth=1
	s_delay_alu instid0(VALU_DEP_1)
	v_readlane_b32 vcc_lo, v18, 0
	s_or_b32 exec_lo, exec_lo, vcc_lo
.LBB0_2259:                             ;   in Loop: Header=BB0_7 Depth=1
	s_delay_alu instid0(SALU_CYCLE_1)
	s_or_b32 exec_lo, exec_lo, s104
.LBB0_2260:                             ;   in Loop: Header=BB0_7 Depth=1
	s_delay_alu instid0(SALU_CYCLE_1)
	s_or_b32 exec_lo, exec_lo, s101
.LBB0_2261:                             ;   in Loop: Header=BB0_7 Depth=1
	s_delay_alu instid0(SALU_CYCLE_1)
	s_or_b32 exec_lo, exec_lo, s100
.LBB0_2262:                             ;   in Loop: Header=BB0_7 Depth=1
	s_delay_alu instid0(SALU_CYCLE_1)
	s_or_b32 exec_lo, exec_lo, s99
.LBB0_2263:                             ;   in Loop: Header=BB0_7 Depth=1
	s_delay_alu instid0(SALU_CYCLE_1)
	s_or_b32 exec_lo, exec_lo, s98
.LBB0_2264:                             ;   in Loop: Header=BB0_7 Depth=1
	s_delay_alu instid0(SALU_CYCLE_1)
	s_or_b32 exec_lo, exec_lo, s97
.LBB0_2265:                             ;   in Loop: Header=BB0_7 Depth=1
	s_delay_alu instid0(SALU_CYCLE_1)
	s_or_b32 exec_lo, exec_lo, s96
.LBB0_2266:                             ;   in Loop: Header=BB0_7 Depth=1
	s_delay_alu instid0(SALU_CYCLE_1)
	s_or_b32 exec_lo, exec_lo, s95
.LBB0_2267:                             ;   in Loop: Header=BB0_7 Depth=1
	s_delay_alu instid0(SALU_CYCLE_1)
	s_or_b32 exec_lo, exec_lo, s94
.LBB0_2268:                             ;   in Loop: Header=BB0_7 Depth=1
	s_delay_alu instid0(SALU_CYCLE_1)
	s_or_b32 exec_lo, exec_lo, s93
.LBB0_2269:                             ;   in Loop: Header=BB0_7 Depth=1
	s_delay_alu instid0(SALU_CYCLE_1)
	s_or_b32 exec_lo, exec_lo, s92
.LBB0_2270:                             ;   in Loop: Header=BB0_7 Depth=1
	s_delay_alu instid0(SALU_CYCLE_1)
	s_or_b32 exec_lo, exec_lo, s91
.LBB0_2271:                             ;   in Loop: Header=BB0_7 Depth=1
	s_delay_alu instid0(SALU_CYCLE_1)
	s_or_b32 exec_lo, exec_lo, s90
.LBB0_2272:                             ;   in Loop: Header=BB0_7 Depth=1
	s_delay_alu instid0(SALU_CYCLE_1)
	s_or_b32 exec_lo, exec_lo, s89
.LBB0_2273:                             ;   in Loop: Header=BB0_7 Depth=1
	s_delay_alu instid0(SALU_CYCLE_1)
	s_or_b32 exec_lo, exec_lo, s88
.LBB0_2274:                             ;   in Loop: Header=BB0_7 Depth=1
	s_delay_alu instid0(SALU_CYCLE_1)
	s_or_b32 exec_lo, exec_lo, s87
.LBB0_2275:                             ;   in Loop: Header=BB0_7 Depth=1
	s_delay_alu instid0(SALU_CYCLE_1)
	s_or_b32 exec_lo, exec_lo, s86
.LBB0_2276:                             ;   in Loop: Header=BB0_7 Depth=1
	s_delay_alu instid0(SALU_CYCLE_1)
	s_or_b32 exec_lo, exec_lo, s85
.LBB0_2277:                             ;   in Loop: Header=BB0_7 Depth=1
	s_delay_alu instid0(SALU_CYCLE_1)
	s_or_b32 exec_lo, exec_lo, s84
.LBB0_2278:                             ;   in Loop: Header=BB0_7 Depth=1
	s_delay_alu instid0(SALU_CYCLE_1)
	s_or_b32 exec_lo, exec_lo, s83
.LBB0_2279:                             ;   in Loop: Header=BB0_7 Depth=1
	s_delay_alu instid0(SALU_CYCLE_1)
	s_or_b32 exec_lo, exec_lo, s82
.LBB0_2280:                             ;   in Loop: Header=BB0_7 Depth=1
	s_delay_alu instid0(SALU_CYCLE_1)
	s_or_b32 exec_lo, exec_lo, s81
.LBB0_2281:                             ;   in Loop: Header=BB0_7 Depth=1
	s_delay_alu instid0(SALU_CYCLE_1) | instskip(SKIP_1) | instid1(SALU_CYCLE_1)
	s_or_b32 exec_lo, exec_lo, s80
	s_or_b32 s80, s33, 21
	v_cmp_ge_u32_e32 vcc_lo, s80, v0
	s_and_saveexec_b32 s80, vcc_lo
	s_delay_alu instid0(SALU_CYCLE_1)
	s_xor_b32 s80, exec_lo, s80
; %bb.2282:                             ;   in Loop: Header=BB0_7 Depth=1
	v_or_b32_e32 v1, 0x7c00, v1
; %bb.2283:                             ;   in Loop: Header=BB0_7 Depth=1
	s_and_not1_saveexec_b32 s80, s80
	s_cbranch_execz .LBB0_2407
; %bb.2284:                             ;   in Loop: Header=BB0_7 Depth=1
	s_add_co_i32 s81, s62, 0
	s_delay_alu instid0(SALU_CYCLE_1)
	v_mov_b32_e32 v8, s81
	s_mov_b32 s81, exec_lo
	ds_load_2addr_b64 v[12:15], v8 offset0:63 offset1:64
	ds_load_b64 v[16:17], v8 offset:520
	s_wait_dscnt 0x1
	v_mul_f64_e32 v[8:9], v[4:5], v[14:15]
	s_delay_alu instid0(VALU_DEP_1) | instskip(SKIP_1) | instid1(VALU_DEP_1)
	v_fmac_f64_e32 v[8:9], v[2:3], v[12:13]
	s_wait_dscnt 0x0
	v_fmac_f64_e32 v[8:9], v[6:7], v[16:17]
	s_delay_alu instid0(VALU_DEP_1)
	v_cmpx_ngt_f64_e32 s[60:61], v[8:9]
	s_xor_b32 s81, exec_lo, s81
	s_cbranch_execz .LBB0_2404
; %bb.2285:                             ;   in Loop: Header=BB0_7 Depth=1
	s_mov_b32 s82, exec_lo
	v_cmpx_ngt_f64_e32 s[66:67], v[8:9]
	s_xor_b32 s82, exec_lo, s82
	s_cbranch_execz .LBB0_2401
; %bb.2286:                             ;   in Loop: Header=BB0_7 Depth=1
	s_mov_b32 s83, exec_lo
	;; [unrolled: 5-line block ×21, first 2 shown]
	v_cmpx_ngt_f64_e32 s[18:19], v[8:9]
	s_xor_b32 s104, exec_lo, s104
	s_cbranch_execz .LBB0_2341
; %bb.2306:                             ;   in Loop: Header=BB0_7 Depth=1
	s_mov_b32 vcc_hi, exec_lo
	v_cmpx_ngt_f64_e32 s[16:17], v[8:9]
	s_xor_b32 vcc_hi, exec_lo, vcc_hi
	s_delay_alu instid0(SALU_CYCLE_1)
	v_writelane_b32 v18, vcc_hi, 0
	s_cbranch_execz .LBB0_2338
; %bb.2307:                             ;   in Loop: Header=BB0_7 Depth=1
	s_mov_b32 vcc_hi, exec_lo
	v_cmpx_ngt_f64_e32 s[50:51], v[8:9]
	s_xor_b32 vcc_hi, exec_lo, vcc_hi
	s_delay_alu instid0(SALU_CYCLE_1)
	v_writelane_b32 v18, vcc_hi, 1
	;; [unrolled: 7-line block ×8, first 2 shown]
	s_cbranch_execz .LBB0_2317
; %bb.2314:                             ;   in Loop: Header=BB0_7 Depth=1
	s_mov_b32 vcc_lo, exec_lo
	v_cmpx_gt_f64_e32 s[36:37], v[8:9]
; %bb.2315:                             ;   in Loop: Header=BB0_7 Depth=1
	v_or_b32_e32 v1, 0x400, v1
; %bb.2316:                             ;   in Loop: Header=BB0_7 Depth=1
	s_or_b32 exec_lo, exec_lo, vcc_lo
.LBB0_2317:                             ;   in Loop: Header=BB0_7 Depth=1
	s_delay_alu instid0(VALU_DEP_1)
	v_readlane_b32 vcc_lo, v18, 8
	s_and_not1_saveexec_b32 vcc_lo, vcc_lo
; %bb.2318:                             ;   in Loop: Header=BB0_7 Depth=1
	v_or_b32_e32 v1, 0x800, v1
; %bb.2319:                             ;   in Loop: Header=BB0_7 Depth=1
	s_or_b32 exec_lo, exec_lo, vcc_lo
.LBB0_2320:                             ;   in Loop: Header=BB0_7 Depth=1
	s_delay_alu instid0(VALU_DEP_1)
	v_readlane_b32 vcc_lo, v18, 6
	s_and_not1_saveexec_b32 vcc_lo, vcc_lo
; %bb.2321:                             ;   in Loop: Header=BB0_7 Depth=1
	v_or_b32_e32 v1, 0xc00, v1
; %bb.2322:                             ;   in Loop: Header=BB0_7 Depth=1
	s_or_b32 exec_lo, exec_lo, vcc_lo
.LBB0_2323:                             ;   in Loop: Header=BB0_7 Depth=1
	s_delay_alu instid0(VALU_DEP_1)
	v_readlane_b32 vcc_lo, v18, 5
	s_and_not1_saveexec_b32 vcc_lo, vcc_lo
; %bb.2324:                             ;   in Loop: Header=BB0_7 Depth=1
	v_or_b32_e32 v1, 0x1000, v1
; %bb.2325:                             ;   in Loop: Header=BB0_7 Depth=1
	s_or_b32 exec_lo, exec_lo, vcc_lo
.LBB0_2326:                             ;   in Loop: Header=BB0_7 Depth=1
	s_delay_alu instid0(VALU_DEP_1)
	v_readlane_b32 vcc_lo, v18, 4
	s_and_not1_saveexec_b32 vcc_lo, vcc_lo
; %bb.2327:                             ;   in Loop: Header=BB0_7 Depth=1
	v_or_b32_e32 v1, 0x1400, v1
; %bb.2328:                             ;   in Loop: Header=BB0_7 Depth=1
	s_or_b32 exec_lo, exec_lo, vcc_lo
.LBB0_2329:                             ;   in Loop: Header=BB0_7 Depth=1
	s_delay_alu instid0(VALU_DEP_1)
	v_readlane_b32 vcc_lo, v18, 3
	s_and_not1_saveexec_b32 vcc_lo, vcc_lo
; %bb.2330:                             ;   in Loop: Header=BB0_7 Depth=1
	v_or_b32_e32 v1, 0x1800, v1
; %bb.2331:                             ;   in Loop: Header=BB0_7 Depth=1
	s_or_b32 exec_lo, exec_lo, vcc_lo
.LBB0_2332:                             ;   in Loop: Header=BB0_7 Depth=1
	s_delay_alu instid0(VALU_DEP_1)
	v_readlane_b32 vcc_lo, v18, 2
	s_and_not1_saveexec_b32 vcc_lo, vcc_lo
; %bb.2333:                             ;   in Loop: Header=BB0_7 Depth=1
	v_or_b32_e32 v1, 0x1c00, v1
; %bb.2334:                             ;   in Loop: Header=BB0_7 Depth=1
	s_or_b32 exec_lo, exec_lo, vcc_lo
.LBB0_2335:                             ;   in Loop: Header=BB0_7 Depth=1
	s_delay_alu instid0(VALU_DEP_1)
	v_readlane_b32 vcc_lo, v18, 1
	s_and_not1_saveexec_b32 vcc_lo, vcc_lo
; %bb.2336:                             ;   in Loop: Header=BB0_7 Depth=1
	v_or_b32_e32 v1, 0x2000, v1
; %bb.2337:                             ;   in Loop: Header=BB0_7 Depth=1
	s_or_b32 exec_lo, exec_lo, vcc_lo
.LBB0_2338:                             ;   in Loop: Header=BB0_7 Depth=1
	s_delay_alu instid0(VALU_DEP_1)
	v_readlane_b32 vcc_lo, v18, 0
	s_and_not1_saveexec_b32 vcc_lo, vcc_lo
; %bb.2339:                             ;   in Loop: Header=BB0_7 Depth=1
	v_or_b32_e32 v1, 0x2400, v1
; %bb.2340:                             ;   in Loop: Header=BB0_7 Depth=1
	s_or_b32 exec_lo, exec_lo, vcc_lo
.LBB0_2341:                             ;   in Loop: Header=BB0_7 Depth=1
	s_and_not1_saveexec_b32 s104, s104
; %bb.2342:                             ;   in Loop: Header=BB0_7 Depth=1
	s_delay_alu instid0(VALU_DEP_1)
	v_or_b32_e32 v1, 0x2800, v1
; %bb.2343:                             ;   in Loop: Header=BB0_7 Depth=1
	s_or_b32 exec_lo, exec_lo, s104
.LBB0_2344:                             ;   in Loop: Header=BB0_7 Depth=1
	s_and_not1_saveexec_b32 s101, s101
; %bb.2345:                             ;   in Loop: Header=BB0_7 Depth=1
	s_delay_alu instid0(VALU_DEP_1)
	v_or_b32_e32 v1, 0x2c00, v1
; %bb.2346:                             ;   in Loop: Header=BB0_7 Depth=1
	s_or_b32 exec_lo, exec_lo, s101
.LBB0_2347:                             ;   in Loop: Header=BB0_7 Depth=1
	s_and_not1_saveexec_b32 s100, s100
; %bb.2348:                             ;   in Loop: Header=BB0_7 Depth=1
	s_delay_alu instid0(VALU_DEP_1)
	v_or_b32_e32 v1, 0x3000, v1
; %bb.2349:                             ;   in Loop: Header=BB0_7 Depth=1
	s_or_b32 exec_lo, exec_lo, s100
.LBB0_2350:                             ;   in Loop: Header=BB0_7 Depth=1
	s_and_not1_saveexec_b32 s99, s99
; %bb.2351:                             ;   in Loop: Header=BB0_7 Depth=1
	s_delay_alu instid0(VALU_DEP_1)
	v_or_b32_e32 v1, 0x3400, v1
; %bb.2352:                             ;   in Loop: Header=BB0_7 Depth=1
	s_or_b32 exec_lo, exec_lo, s99
.LBB0_2353:                             ;   in Loop: Header=BB0_7 Depth=1
	s_and_not1_saveexec_b32 s98, s98
; %bb.2354:                             ;   in Loop: Header=BB0_7 Depth=1
	s_delay_alu instid0(VALU_DEP_1)
	v_or_b32_e32 v1, 0x3800, v1
; %bb.2355:                             ;   in Loop: Header=BB0_7 Depth=1
	s_or_b32 exec_lo, exec_lo, s98
.LBB0_2356:                             ;   in Loop: Header=BB0_7 Depth=1
	s_and_not1_saveexec_b32 s97, s97
; %bb.2357:                             ;   in Loop: Header=BB0_7 Depth=1
	s_delay_alu instid0(VALU_DEP_1)
	v_or_b32_e32 v1, 0x3c00, v1
; %bb.2358:                             ;   in Loop: Header=BB0_7 Depth=1
	s_or_b32 exec_lo, exec_lo, s97
.LBB0_2359:                             ;   in Loop: Header=BB0_7 Depth=1
	s_and_not1_saveexec_b32 s96, s96
; %bb.2360:                             ;   in Loop: Header=BB0_7 Depth=1
	s_delay_alu instid0(VALU_DEP_1)
	v_or_b32_e32 v1, 0x4000, v1
; %bb.2361:                             ;   in Loop: Header=BB0_7 Depth=1
	s_or_b32 exec_lo, exec_lo, s96
.LBB0_2362:                             ;   in Loop: Header=BB0_7 Depth=1
	s_and_not1_saveexec_b32 s95, s95
; %bb.2363:                             ;   in Loop: Header=BB0_7 Depth=1
	s_delay_alu instid0(VALU_DEP_1)
	v_or_b32_e32 v1, 0x4400, v1
; %bb.2364:                             ;   in Loop: Header=BB0_7 Depth=1
	s_or_b32 exec_lo, exec_lo, s95
.LBB0_2365:                             ;   in Loop: Header=BB0_7 Depth=1
	s_and_not1_saveexec_b32 s94, s94
; %bb.2366:                             ;   in Loop: Header=BB0_7 Depth=1
	s_delay_alu instid0(VALU_DEP_1)
	v_or_b32_e32 v1, 0x4800, v1
; %bb.2367:                             ;   in Loop: Header=BB0_7 Depth=1
	s_or_b32 exec_lo, exec_lo, s94
.LBB0_2368:                             ;   in Loop: Header=BB0_7 Depth=1
	s_and_not1_saveexec_b32 s93, s93
; %bb.2369:                             ;   in Loop: Header=BB0_7 Depth=1
	s_delay_alu instid0(VALU_DEP_1)
	v_or_b32_e32 v1, 0x4c00, v1
; %bb.2370:                             ;   in Loop: Header=BB0_7 Depth=1
	s_or_b32 exec_lo, exec_lo, s93
.LBB0_2371:                             ;   in Loop: Header=BB0_7 Depth=1
	s_and_not1_saveexec_b32 s92, s92
; %bb.2372:                             ;   in Loop: Header=BB0_7 Depth=1
	s_delay_alu instid0(VALU_DEP_1)
	v_or_b32_e32 v1, 0x5000, v1
; %bb.2373:                             ;   in Loop: Header=BB0_7 Depth=1
	s_or_b32 exec_lo, exec_lo, s92
.LBB0_2374:                             ;   in Loop: Header=BB0_7 Depth=1
	s_and_not1_saveexec_b32 s91, s91
; %bb.2375:                             ;   in Loop: Header=BB0_7 Depth=1
	s_delay_alu instid0(VALU_DEP_1)
	v_or_b32_e32 v1, 0x5400, v1
; %bb.2376:                             ;   in Loop: Header=BB0_7 Depth=1
	s_or_b32 exec_lo, exec_lo, s91
.LBB0_2377:                             ;   in Loop: Header=BB0_7 Depth=1
	s_and_not1_saveexec_b32 s90, s90
; %bb.2378:                             ;   in Loop: Header=BB0_7 Depth=1
	s_delay_alu instid0(VALU_DEP_1)
	v_or_b32_e32 v1, 0x5800, v1
; %bb.2379:                             ;   in Loop: Header=BB0_7 Depth=1
	s_or_b32 exec_lo, exec_lo, s90
.LBB0_2380:                             ;   in Loop: Header=BB0_7 Depth=1
	s_and_not1_saveexec_b32 s89, s89
; %bb.2381:                             ;   in Loop: Header=BB0_7 Depth=1
	s_delay_alu instid0(VALU_DEP_1)
	v_or_b32_e32 v1, 0x5c00, v1
; %bb.2382:                             ;   in Loop: Header=BB0_7 Depth=1
	s_or_b32 exec_lo, exec_lo, s89
.LBB0_2383:                             ;   in Loop: Header=BB0_7 Depth=1
	s_and_not1_saveexec_b32 s88, s88
; %bb.2384:                             ;   in Loop: Header=BB0_7 Depth=1
	s_delay_alu instid0(VALU_DEP_1)
	v_or_b32_e32 v1, 0x6000, v1
; %bb.2385:                             ;   in Loop: Header=BB0_7 Depth=1
	s_or_b32 exec_lo, exec_lo, s88
.LBB0_2386:                             ;   in Loop: Header=BB0_7 Depth=1
	s_and_not1_saveexec_b32 s87, s87
; %bb.2387:                             ;   in Loop: Header=BB0_7 Depth=1
	s_delay_alu instid0(VALU_DEP_1)
	v_or_b32_e32 v1, 0x6400, v1
; %bb.2388:                             ;   in Loop: Header=BB0_7 Depth=1
	s_or_b32 exec_lo, exec_lo, s87
.LBB0_2389:                             ;   in Loop: Header=BB0_7 Depth=1
	s_and_not1_saveexec_b32 s86, s86
; %bb.2390:                             ;   in Loop: Header=BB0_7 Depth=1
	s_delay_alu instid0(VALU_DEP_1)
	v_or_b32_e32 v1, 0x6800, v1
; %bb.2391:                             ;   in Loop: Header=BB0_7 Depth=1
	s_or_b32 exec_lo, exec_lo, s86
.LBB0_2392:                             ;   in Loop: Header=BB0_7 Depth=1
	s_and_not1_saveexec_b32 s85, s85
; %bb.2393:                             ;   in Loop: Header=BB0_7 Depth=1
	s_delay_alu instid0(VALU_DEP_1)
	v_or_b32_e32 v1, 0x6c00, v1
; %bb.2394:                             ;   in Loop: Header=BB0_7 Depth=1
	s_or_b32 exec_lo, exec_lo, s85
.LBB0_2395:                             ;   in Loop: Header=BB0_7 Depth=1
	s_and_not1_saveexec_b32 s84, s84
; %bb.2396:                             ;   in Loop: Header=BB0_7 Depth=1
	s_delay_alu instid0(VALU_DEP_1)
	v_or_b32_e32 v1, 0x7000, v1
; %bb.2397:                             ;   in Loop: Header=BB0_7 Depth=1
	s_or_b32 exec_lo, exec_lo, s84
.LBB0_2398:                             ;   in Loop: Header=BB0_7 Depth=1
	s_and_not1_saveexec_b32 s83, s83
; %bb.2399:                             ;   in Loop: Header=BB0_7 Depth=1
	s_delay_alu instid0(VALU_DEP_1)
	v_or_b32_e32 v1, 0x7400, v1
; %bb.2400:                             ;   in Loop: Header=BB0_7 Depth=1
	s_or_b32 exec_lo, exec_lo, s83
.LBB0_2401:                             ;   in Loop: Header=BB0_7 Depth=1
	s_and_not1_saveexec_b32 s82, s82
; %bb.2402:                             ;   in Loop: Header=BB0_7 Depth=1
	s_delay_alu instid0(VALU_DEP_1)
	v_or_b32_e32 v1, 0x7800, v1
; %bb.2403:                             ;   in Loop: Header=BB0_7 Depth=1
	s_or_b32 exec_lo, exec_lo, s82
.LBB0_2404:                             ;   in Loop: Header=BB0_7 Depth=1
	s_and_not1_saveexec_b32 s81, s81
; %bb.2405:                             ;   in Loop: Header=BB0_7 Depth=1
	s_delay_alu instid0(VALU_DEP_1)
	v_or_b32_e32 v1, 0x7c00, v1
; %bb.2406:                             ;   in Loop: Header=BB0_7 Depth=1
	s_or_b32 exec_lo, exec_lo, s81
.LBB0_2407:                             ;   in Loop: Header=BB0_7 Depth=1
	s_delay_alu instid0(SALU_CYCLE_1) | instskip(SKIP_1) | instid1(SALU_CYCLE_1)
	s_or_b32 exec_lo, exec_lo, s80
	s_or_b32 s80, s33, 22
	v_cmp_ge_u32_e32 vcc_lo, s80, v0
	s_and_saveexec_b32 s80, vcc_lo
	s_delay_alu instid0(SALU_CYCLE_1)
	s_xor_b32 s80, exec_lo, s80
; %bb.2408:                             ;   in Loop: Header=BB0_7 Depth=1
	v_add_nc_u32_e32 v1, 0x7c0000, v1
; %bb.2409:                             ;   in Loop: Header=BB0_7 Depth=1
	s_and_not1_saveexec_b32 s80, s80
	s_cbranch_execz .LBB0_2533
; %bb.2410:                             ;   in Loop: Header=BB0_7 Depth=1
	s_add_co_i32 s81, s62, 0
	s_delay_alu instid0(SALU_CYCLE_1)
	v_mov_b32_e32 v8, s81
	s_mov_b32 s81, exec_lo
	ds_load_2addr_b64 v[12:15], v8 offset0:66 offset1:67
	ds_load_b64 v[16:17], v8 offset:544
	s_wait_dscnt 0x1
	v_mul_f64_e32 v[8:9], v[4:5], v[14:15]
	s_delay_alu instid0(VALU_DEP_1) | instskip(SKIP_1) | instid1(VALU_DEP_1)
	v_fmac_f64_e32 v[8:9], v[2:3], v[12:13]
	s_wait_dscnt 0x0
	v_fmac_f64_e32 v[8:9], v[6:7], v[16:17]
	s_delay_alu instid0(VALU_DEP_1)
	v_cmpx_ngt_f64_e32 s[60:61], v[8:9]
	s_xor_b32 s81, exec_lo, s81
	s_cbranch_execz .LBB0_2530
; %bb.2411:                             ;   in Loop: Header=BB0_7 Depth=1
	s_mov_b32 s82, exec_lo
	v_cmpx_ngt_f64_e32 s[66:67], v[8:9]
	s_xor_b32 s82, exec_lo, s82
	s_cbranch_execz .LBB0_2527
; %bb.2412:                             ;   in Loop: Header=BB0_7 Depth=1
	s_mov_b32 s83, exec_lo
	;; [unrolled: 5-line block ×21, first 2 shown]
	v_cmpx_ngt_f64_e32 s[18:19], v[8:9]
	s_xor_b32 s104, exec_lo, s104
	s_cbranch_execz .LBB0_2467
; %bb.2432:                             ;   in Loop: Header=BB0_7 Depth=1
	s_mov_b32 vcc_hi, exec_lo
	v_cmpx_ngt_f64_e32 s[16:17], v[8:9]
	s_xor_b32 vcc_hi, exec_lo, vcc_hi
	s_delay_alu instid0(SALU_CYCLE_1)
	v_writelane_b32 v18, vcc_hi, 0
	s_cbranch_execz .LBB0_2464
; %bb.2433:                             ;   in Loop: Header=BB0_7 Depth=1
	s_mov_b32 vcc_hi, exec_lo
	v_cmpx_ngt_f64_e32 s[50:51], v[8:9]
	s_xor_b32 vcc_hi, exec_lo, vcc_hi
	s_delay_alu instid0(SALU_CYCLE_1)
	v_writelane_b32 v18, vcc_hi, 1
	;; [unrolled: 7-line block ×8, first 2 shown]
	s_cbranch_execz .LBB0_2443
; %bb.2440:                             ;   in Loop: Header=BB0_7 Depth=1
	s_mov_b32 vcc_lo, exec_lo
	v_cmpx_gt_f64_e32 s[36:37], v[8:9]
; %bb.2441:                             ;   in Loop: Header=BB0_7 Depth=1
	v_add_nc_u32_e32 v1, 0x40000, v1
; %bb.2442:                             ;   in Loop: Header=BB0_7 Depth=1
	s_or_b32 exec_lo, exec_lo, vcc_lo
.LBB0_2443:                             ;   in Loop: Header=BB0_7 Depth=1
	s_delay_alu instid0(VALU_DEP_1)
	v_readlane_b32 vcc_lo, v18, 8
	s_and_not1_saveexec_b32 vcc_lo, vcc_lo
; %bb.2444:                             ;   in Loop: Header=BB0_7 Depth=1
	v_add_nc_u32_e32 v1, 0x80000, v1
; %bb.2445:                             ;   in Loop: Header=BB0_7 Depth=1
	s_or_b32 exec_lo, exec_lo, vcc_lo
.LBB0_2446:                             ;   in Loop: Header=BB0_7 Depth=1
	s_delay_alu instid0(VALU_DEP_1)
	v_readlane_b32 vcc_lo, v18, 6
	s_and_not1_saveexec_b32 vcc_lo, vcc_lo
; %bb.2447:                             ;   in Loop: Header=BB0_7 Depth=1
	v_add_nc_u32_e32 v1, 0xc0000, v1
; %bb.2448:                             ;   in Loop: Header=BB0_7 Depth=1
	s_or_b32 exec_lo, exec_lo, vcc_lo
.LBB0_2449:                             ;   in Loop: Header=BB0_7 Depth=1
	s_delay_alu instid0(VALU_DEP_1)
	v_readlane_b32 vcc_lo, v18, 5
	s_and_not1_saveexec_b32 vcc_lo, vcc_lo
; %bb.2450:                             ;   in Loop: Header=BB0_7 Depth=1
	v_add_nc_u32_e32 v1, 0x100000, v1
; %bb.2451:                             ;   in Loop: Header=BB0_7 Depth=1
	s_or_b32 exec_lo, exec_lo, vcc_lo
.LBB0_2452:                             ;   in Loop: Header=BB0_7 Depth=1
	s_delay_alu instid0(VALU_DEP_1)
	v_readlane_b32 vcc_lo, v18, 4
	s_and_not1_saveexec_b32 vcc_lo, vcc_lo
; %bb.2453:                             ;   in Loop: Header=BB0_7 Depth=1
	v_add_nc_u32_e32 v1, 0x140000, v1
; %bb.2454:                             ;   in Loop: Header=BB0_7 Depth=1
	s_or_b32 exec_lo, exec_lo, vcc_lo
.LBB0_2455:                             ;   in Loop: Header=BB0_7 Depth=1
	s_delay_alu instid0(VALU_DEP_1)
	v_readlane_b32 vcc_lo, v18, 3
	s_and_not1_saveexec_b32 vcc_lo, vcc_lo
; %bb.2456:                             ;   in Loop: Header=BB0_7 Depth=1
	v_add_nc_u32_e32 v1, 0x180000, v1
; %bb.2457:                             ;   in Loop: Header=BB0_7 Depth=1
	s_or_b32 exec_lo, exec_lo, vcc_lo
.LBB0_2458:                             ;   in Loop: Header=BB0_7 Depth=1
	s_delay_alu instid0(VALU_DEP_1)
	v_readlane_b32 vcc_lo, v18, 2
	s_and_not1_saveexec_b32 vcc_lo, vcc_lo
; %bb.2459:                             ;   in Loop: Header=BB0_7 Depth=1
	v_add_nc_u32_e32 v1, 0x1c0000, v1
; %bb.2460:                             ;   in Loop: Header=BB0_7 Depth=1
	s_or_b32 exec_lo, exec_lo, vcc_lo
.LBB0_2461:                             ;   in Loop: Header=BB0_7 Depth=1
	s_delay_alu instid0(VALU_DEP_1)
	v_readlane_b32 vcc_lo, v18, 1
	s_and_not1_saveexec_b32 vcc_lo, vcc_lo
; %bb.2462:                             ;   in Loop: Header=BB0_7 Depth=1
	v_add_nc_u32_e32 v1, 0x200000, v1
; %bb.2463:                             ;   in Loop: Header=BB0_7 Depth=1
	s_or_b32 exec_lo, exec_lo, vcc_lo
.LBB0_2464:                             ;   in Loop: Header=BB0_7 Depth=1
	s_delay_alu instid0(VALU_DEP_1)
	v_readlane_b32 vcc_lo, v18, 0
	s_and_not1_saveexec_b32 vcc_lo, vcc_lo
; %bb.2465:                             ;   in Loop: Header=BB0_7 Depth=1
	v_add_nc_u32_e32 v1, 0x240000, v1
; %bb.2466:                             ;   in Loop: Header=BB0_7 Depth=1
	s_or_b32 exec_lo, exec_lo, vcc_lo
.LBB0_2467:                             ;   in Loop: Header=BB0_7 Depth=1
	s_and_not1_saveexec_b32 s104, s104
; %bb.2468:                             ;   in Loop: Header=BB0_7 Depth=1
	s_delay_alu instid0(VALU_DEP_1)
	v_add_nc_u32_e32 v1, 0x280000, v1
; %bb.2469:                             ;   in Loop: Header=BB0_7 Depth=1
	s_or_b32 exec_lo, exec_lo, s104
.LBB0_2470:                             ;   in Loop: Header=BB0_7 Depth=1
	s_and_not1_saveexec_b32 s101, s101
; %bb.2471:                             ;   in Loop: Header=BB0_7 Depth=1
	s_delay_alu instid0(VALU_DEP_1)
	v_add_nc_u32_e32 v1, 0x2c0000, v1
; %bb.2472:                             ;   in Loop: Header=BB0_7 Depth=1
	s_or_b32 exec_lo, exec_lo, s101
.LBB0_2473:                             ;   in Loop: Header=BB0_7 Depth=1
	s_and_not1_saveexec_b32 s100, s100
; %bb.2474:                             ;   in Loop: Header=BB0_7 Depth=1
	s_delay_alu instid0(VALU_DEP_1)
	v_add_nc_u32_e32 v1, 0x300000, v1
; %bb.2475:                             ;   in Loop: Header=BB0_7 Depth=1
	s_or_b32 exec_lo, exec_lo, s100
.LBB0_2476:                             ;   in Loop: Header=BB0_7 Depth=1
	s_and_not1_saveexec_b32 s99, s99
; %bb.2477:                             ;   in Loop: Header=BB0_7 Depth=1
	s_delay_alu instid0(VALU_DEP_1)
	v_add_nc_u32_e32 v1, 0x340000, v1
; %bb.2478:                             ;   in Loop: Header=BB0_7 Depth=1
	s_or_b32 exec_lo, exec_lo, s99
.LBB0_2479:                             ;   in Loop: Header=BB0_7 Depth=1
	s_and_not1_saveexec_b32 s98, s98
; %bb.2480:                             ;   in Loop: Header=BB0_7 Depth=1
	s_delay_alu instid0(VALU_DEP_1)
	v_add_nc_u32_e32 v1, 0x380000, v1
; %bb.2481:                             ;   in Loop: Header=BB0_7 Depth=1
	s_or_b32 exec_lo, exec_lo, s98
.LBB0_2482:                             ;   in Loop: Header=BB0_7 Depth=1
	s_and_not1_saveexec_b32 s97, s97
; %bb.2483:                             ;   in Loop: Header=BB0_7 Depth=1
	s_delay_alu instid0(VALU_DEP_1)
	v_add_nc_u32_e32 v1, 0x3c0000, v1
; %bb.2484:                             ;   in Loop: Header=BB0_7 Depth=1
	s_or_b32 exec_lo, exec_lo, s97
.LBB0_2485:                             ;   in Loop: Header=BB0_7 Depth=1
	s_and_not1_saveexec_b32 s96, s96
; %bb.2486:                             ;   in Loop: Header=BB0_7 Depth=1
	s_delay_alu instid0(VALU_DEP_1)
	v_add_nc_u32_e32 v1, 0x400000, v1
; %bb.2487:                             ;   in Loop: Header=BB0_7 Depth=1
	s_or_b32 exec_lo, exec_lo, s96
.LBB0_2488:                             ;   in Loop: Header=BB0_7 Depth=1
	s_and_not1_saveexec_b32 s95, s95
; %bb.2489:                             ;   in Loop: Header=BB0_7 Depth=1
	s_delay_alu instid0(VALU_DEP_1)
	v_add_nc_u32_e32 v1, 0x440000, v1
; %bb.2490:                             ;   in Loop: Header=BB0_7 Depth=1
	s_or_b32 exec_lo, exec_lo, s95
.LBB0_2491:                             ;   in Loop: Header=BB0_7 Depth=1
	s_and_not1_saveexec_b32 s94, s94
; %bb.2492:                             ;   in Loop: Header=BB0_7 Depth=1
	s_delay_alu instid0(VALU_DEP_1)
	v_add_nc_u32_e32 v1, 0x480000, v1
; %bb.2493:                             ;   in Loop: Header=BB0_7 Depth=1
	s_or_b32 exec_lo, exec_lo, s94
.LBB0_2494:                             ;   in Loop: Header=BB0_7 Depth=1
	s_and_not1_saveexec_b32 s93, s93
; %bb.2495:                             ;   in Loop: Header=BB0_7 Depth=1
	s_delay_alu instid0(VALU_DEP_1)
	v_add_nc_u32_e32 v1, 0x4c0000, v1
; %bb.2496:                             ;   in Loop: Header=BB0_7 Depth=1
	s_or_b32 exec_lo, exec_lo, s93
.LBB0_2497:                             ;   in Loop: Header=BB0_7 Depth=1
	s_and_not1_saveexec_b32 s92, s92
; %bb.2498:                             ;   in Loop: Header=BB0_7 Depth=1
	s_delay_alu instid0(VALU_DEP_1)
	v_add_nc_u32_e32 v1, 0x500000, v1
; %bb.2499:                             ;   in Loop: Header=BB0_7 Depth=1
	s_or_b32 exec_lo, exec_lo, s92
.LBB0_2500:                             ;   in Loop: Header=BB0_7 Depth=1
	s_and_not1_saveexec_b32 s91, s91
; %bb.2501:                             ;   in Loop: Header=BB0_7 Depth=1
	s_delay_alu instid0(VALU_DEP_1)
	v_add_nc_u32_e32 v1, 0x540000, v1
; %bb.2502:                             ;   in Loop: Header=BB0_7 Depth=1
	s_or_b32 exec_lo, exec_lo, s91
.LBB0_2503:                             ;   in Loop: Header=BB0_7 Depth=1
	s_and_not1_saveexec_b32 s90, s90
; %bb.2504:                             ;   in Loop: Header=BB0_7 Depth=1
	s_delay_alu instid0(VALU_DEP_1)
	v_add_nc_u32_e32 v1, 0x580000, v1
; %bb.2505:                             ;   in Loop: Header=BB0_7 Depth=1
	s_or_b32 exec_lo, exec_lo, s90
.LBB0_2506:                             ;   in Loop: Header=BB0_7 Depth=1
	s_and_not1_saveexec_b32 s89, s89
; %bb.2507:                             ;   in Loop: Header=BB0_7 Depth=1
	s_delay_alu instid0(VALU_DEP_1)
	v_add_nc_u32_e32 v1, 0x5c0000, v1
; %bb.2508:                             ;   in Loop: Header=BB0_7 Depth=1
	s_or_b32 exec_lo, exec_lo, s89
.LBB0_2509:                             ;   in Loop: Header=BB0_7 Depth=1
	s_and_not1_saveexec_b32 s88, s88
; %bb.2510:                             ;   in Loop: Header=BB0_7 Depth=1
	s_delay_alu instid0(VALU_DEP_1)
	v_add_nc_u32_e32 v1, 0x600000, v1
; %bb.2511:                             ;   in Loop: Header=BB0_7 Depth=1
	s_or_b32 exec_lo, exec_lo, s88
.LBB0_2512:                             ;   in Loop: Header=BB0_7 Depth=1
	s_and_not1_saveexec_b32 s87, s87
; %bb.2513:                             ;   in Loop: Header=BB0_7 Depth=1
	s_delay_alu instid0(VALU_DEP_1)
	v_add_nc_u32_e32 v1, 0x640000, v1
; %bb.2514:                             ;   in Loop: Header=BB0_7 Depth=1
	s_or_b32 exec_lo, exec_lo, s87
.LBB0_2515:                             ;   in Loop: Header=BB0_7 Depth=1
	s_and_not1_saveexec_b32 s86, s86
; %bb.2516:                             ;   in Loop: Header=BB0_7 Depth=1
	s_delay_alu instid0(VALU_DEP_1)
	v_add_nc_u32_e32 v1, 0x680000, v1
; %bb.2517:                             ;   in Loop: Header=BB0_7 Depth=1
	s_or_b32 exec_lo, exec_lo, s86
.LBB0_2518:                             ;   in Loop: Header=BB0_7 Depth=1
	s_and_not1_saveexec_b32 s85, s85
; %bb.2519:                             ;   in Loop: Header=BB0_7 Depth=1
	s_delay_alu instid0(VALU_DEP_1)
	v_add_nc_u32_e32 v1, 0x6c0000, v1
; %bb.2520:                             ;   in Loop: Header=BB0_7 Depth=1
	s_or_b32 exec_lo, exec_lo, s85
.LBB0_2521:                             ;   in Loop: Header=BB0_7 Depth=1
	s_and_not1_saveexec_b32 s84, s84
; %bb.2522:                             ;   in Loop: Header=BB0_7 Depth=1
	s_delay_alu instid0(VALU_DEP_1)
	v_add_nc_u32_e32 v1, 0x700000, v1
; %bb.2523:                             ;   in Loop: Header=BB0_7 Depth=1
	s_or_b32 exec_lo, exec_lo, s84
.LBB0_2524:                             ;   in Loop: Header=BB0_7 Depth=1
	s_and_not1_saveexec_b32 s83, s83
; %bb.2525:                             ;   in Loop: Header=BB0_7 Depth=1
	s_delay_alu instid0(VALU_DEP_1)
	v_add_nc_u32_e32 v1, 0x740000, v1
; %bb.2526:                             ;   in Loop: Header=BB0_7 Depth=1
	s_or_b32 exec_lo, exec_lo, s83
.LBB0_2527:                             ;   in Loop: Header=BB0_7 Depth=1
	s_and_not1_saveexec_b32 s82, s82
; %bb.2528:                             ;   in Loop: Header=BB0_7 Depth=1
	s_delay_alu instid0(VALU_DEP_1)
	v_add_nc_u32_e32 v1, 0x780000, v1
; %bb.2529:                             ;   in Loop: Header=BB0_7 Depth=1
	s_or_b32 exec_lo, exec_lo, s82
.LBB0_2530:                             ;   in Loop: Header=BB0_7 Depth=1
	s_and_not1_saveexec_b32 s81, s81
; %bb.2531:                             ;   in Loop: Header=BB0_7 Depth=1
	s_delay_alu instid0(VALU_DEP_1)
	v_add_nc_u32_e32 v1, 0x7c0000, v1
; %bb.2532:                             ;   in Loop: Header=BB0_7 Depth=1
	s_or_b32 exec_lo, exec_lo, s81
.LBB0_2533:                             ;   in Loop: Header=BB0_7 Depth=1
	s_delay_alu instid0(SALU_CYCLE_1) | instskip(SKIP_1) | instid1(SALU_CYCLE_1)
	s_or_b32 exec_lo, exec_lo, s80
	s_or_b32 s80, s33, 23
	v_cmp_ge_u32_e32 vcc_lo, s80, v0
	s_and_saveexec_b32 s80, vcc_lo
	s_delay_alu instid0(SALU_CYCLE_1)
	s_xor_b32 s80, exec_lo, s80
; %bb.2534:                             ;   in Loop: Header=BB0_7 Depth=1
	v_add_nc_u32_e32 v1, 0x7c000000, v1
; %bb.2535:                             ;   in Loop: Header=BB0_7 Depth=1
	s_and_not1_saveexec_b32 s80, s80
	s_cbranch_execz .LBB0_2659
; %bb.2536:                             ;   in Loop: Header=BB0_7 Depth=1
	s_add_co_i32 s81, s62, 0
	s_delay_alu instid0(SALU_CYCLE_1)
	v_mov_b32_e32 v8, s81
	s_mov_b32 s81, exec_lo
	ds_load_2addr_b64 v[12:15], v8 offset0:69 offset1:70
	ds_load_b64 v[16:17], v8 offset:568
	s_wait_dscnt 0x1
	v_mul_f64_e32 v[8:9], v[4:5], v[14:15]
	s_delay_alu instid0(VALU_DEP_1) | instskip(SKIP_1) | instid1(VALU_DEP_1)
	v_fmac_f64_e32 v[8:9], v[2:3], v[12:13]
	s_wait_dscnt 0x0
	v_fmac_f64_e32 v[8:9], v[6:7], v[16:17]
	s_delay_alu instid0(VALU_DEP_1)
	v_cmpx_ngt_f64_e32 s[60:61], v[8:9]
	s_xor_b32 s81, exec_lo, s81
	s_cbranch_execz .LBB0_2656
; %bb.2537:                             ;   in Loop: Header=BB0_7 Depth=1
	s_mov_b32 s82, exec_lo
	v_cmpx_ngt_f64_e32 s[66:67], v[8:9]
	s_xor_b32 s82, exec_lo, s82
	s_cbranch_execz .LBB0_2653
; %bb.2538:                             ;   in Loop: Header=BB0_7 Depth=1
	s_mov_b32 s83, exec_lo
	;; [unrolled: 5-line block ×21, first 2 shown]
	v_cmpx_ngt_f64_e32 s[18:19], v[8:9]
	s_xor_b32 s104, exec_lo, s104
	s_cbranch_execz .LBB0_2593
; %bb.2558:                             ;   in Loop: Header=BB0_7 Depth=1
	s_mov_b32 vcc_hi, exec_lo
	v_cmpx_ngt_f64_e32 s[16:17], v[8:9]
	s_xor_b32 vcc_hi, exec_lo, vcc_hi
	s_delay_alu instid0(SALU_CYCLE_1)
	v_writelane_b32 v18, vcc_hi, 0
	s_cbranch_execz .LBB0_2590
; %bb.2559:                             ;   in Loop: Header=BB0_7 Depth=1
	s_mov_b32 vcc_hi, exec_lo
	v_cmpx_ngt_f64_e32 s[50:51], v[8:9]
	s_xor_b32 vcc_hi, exec_lo, vcc_hi
	s_delay_alu instid0(SALU_CYCLE_1)
	v_writelane_b32 v18, vcc_hi, 1
	;; [unrolled: 7-line block ×8, first 2 shown]
	s_cbranch_execz .LBB0_2569
; %bb.2566:                             ;   in Loop: Header=BB0_7 Depth=1
	s_mov_b32 vcc_lo, exec_lo
	v_cmpx_gt_f64_e32 s[36:37], v[8:9]
; %bb.2567:                             ;   in Loop: Header=BB0_7 Depth=1
	v_add_nc_u32_e32 v1, 0x4000000, v1
; %bb.2568:                             ;   in Loop: Header=BB0_7 Depth=1
	s_or_b32 exec_lo, exec_lo, vcc_lo
.LBB0_2569:                             ;   in Loop: Header=BB0_7 Depth=1
	s_delay_alu instid0(VALU_DEP_1)
	v_readlane_b32 vcc_lo, v18, 8
	s_and_not1_saveexec_b32 vcc_lo, vcc_lo
; %bb.2570:                             ;   in Loop: Header=BB0_7 Depth=1
	v_add_nc_u32_e32 v1, 0x8000000, v1
; %bb.2571:                             ;   in Loop: Header=BB0_7 Depth=1
	s_or_b32 exec_lo, exec_lo, vcc_lo
.LBB0_2572:                             ;   in Loop: Header=BB0_7 Depth=1
	s_delay_alu instid0(VALU_DEP_1)
	v_readlane_b32 vcc_lo, v18, 6
	s_and_not1_saveexec_b32 vcc_lo, vcc_lo
; %bb.2573:                             ;   in Loop: Header=BB0_7 Depth=1
	v_add_nc_u32_e32 v1, 0xc000000, v1
; %bb.2574:                             ;   in Loop: Header=BB0_7 Depth=1
	s_or_b32 exec_lo, exec_lo, vcc_lo
.LBB0_2575:                             ;   in Loop: Header=BB0_7 Depth=1
	s_delay_alu instid0(VALU_DEP_1)
	v_readlane_b32 vcc_lo, v18, 5
	s_and_not1_saveexec_b32 vcc_lo, vcc_lo
; %bb.2576:                             ;   in Loop: Header=BB0_7 Depth=1
	v_add_nc_u32_e32 v1, 0x10000000, v1
; %bb.2577:                             ;   in Loop: Header=BB0_7 Depth=1
	s_or_b32 exec_lo, exec_lo, vcc_lo
.LBB0_2578:                             ;   in Loop: Header=BB0_7 Depth=1
	s_delay_alu instid0(VALU_DEP_1)
	v_readlane_b32 vcc_lo, v18, 4
	s_and_not1_saveexec_b32 vcc_lo, vcc_lo
; %bb.2579:                             ;   in Loop: Header=BB0_7 Depth=1
	v_add_nc_u32_e32 v1, 0x14000000, v1
; %bb.2580:                             ;   in Loop: Header=BB0_7 Depth=1
	s_or_b32 exec_lo, exec_lo, vcc_lo
.LBB0_2581:                             ;   in Loop: Header=BB0_7 Depth=1
	s_delay_alu instid0(VALU_DEP_1)
	v_readlane_b32 vcc_lo, v18, 3
	s_and_not1_saveexec_b32 vcc_lo, vcc_lo
; %bb.2582:                             ;   in Loop: Header=BB0_7 Depth=1
	v_add_nc_u32_e32 v1, 0x18000000, v1
; %bb.2583:                             ;   in Loop: Header=BB0_7 Depth=1
	s_or_b32 exec_lo, exec_lo, vcc_lo
.LBB0_2584:                             ;   in Loop: Header=BB0_7 Depth=1
	s_delay_alu instid0(VALU_DEP_1)
	v_readlane_b32 vcc_lo, v18, 2
	s_and_not1_saveexec_b32 vcc_lo, vcc_lo
; %bb.2585:                             ;   in Loop: Header=BB0_7 Depth=1
	v_add_nc_u32_e32 v1, 0x1c000000, v1
; %bb.2586:                             ;   in Loop: Header=BB0_7 Depth=1
	s_or_b32 exec_lo, exec_lo, vcc_lo
.LBB0_2587:                             ;   in Loop: Header=BB0_7 Depth=1
	s_delay_alu instid0(VALU_DEP_1)
	v_readlane_b32 vcc_lo, v18, 1
	s_and_not1_saveexec_b32 vcc_lo, vcc_lo
; %bb.2588:                             ;   in Loop: Header=BB0_7 Depth=1
	v_add_nc_u32_e32 v1, 0x20000000, v1
; %bb.2589:                             ;   in Loop: Header=BB0_7 Depth=1
	s_or_b32 exec_lo, exec_lo, vcc_lo
.LBB0_2590:                             ;   in Loop: Header=BB0_7 Depth=1
	s_delay_alu instid0(VALU_DEP_1)
	v_readlane_b32 vcc_lo, v18, 0
	s_and_not1_saveexec_b32 vcc_lo, vcc_lo
; %bb.2591:                             ;   in Loop: Header=BB0_7 Depth=1
	v_add_nc_u32_e32 v1, 0x24000000, v1
; %bb.2592:                             ;   in Loop: Header=BB0_7 Depth=1
	s_or_b32 exec_lo, exec_lo, vcc_lo
.LBB0_2593:                             ;   in Loop: Header=BB0_7 Depth=1
	s_and_not1_saveexec_b32 s104, s104
; %bb.2594:                             ;   in Loop: Header=BB0_7 Depth=1
	s_delay_alu instid0(VALU_DEP_1)
	v_add_nc_u32_e32 v1, 0x28000000, v1
; %bb.2595:                             ;   in Loop: Header=BB0_7 Depth=1
	s_or_b32 exec_lo, exec_lo, s104
.LBB0_2596:                             ;   in Loop: Header=BB0_7 Depth=1
	s_and_not1_saveexec_b32 s101, s101
; %bb.2597:                             ;   in Loop: Header=BB0_7 Depth=1
	s_delay_alu instid0(VALU_DEP_1)
	v_add_nc_u32_e32 v1, 0x2c000000, v1
; %bb.2598:                             ;   in Loop: Header=BB0_7 Depth=1
	s_or_b32 exec_lo, exec_lo, s101
.LBB0_2599:                             ;   in Loop: Header=BB0_7 Depth=1
	s_and_not1_saveexec_b32 s100, s100
; %bb.2600:                             ;   in Loop: Header=BB0_7 Depth=1
	s_delay_alu instid0(VALU_DEP_1)
	v_add_nc_u32_e32 v1, 0x30000000, v1
; %bb.2601:                             ;   in Loop: Header=BB0_7 Depth=1
	s_or_b32 exec_lo, exec_lo, s100
.LBB0_2602:                             ;   in Loop: Header=BB0_7 Depth=1
	s_and_not1_saveexec_b32 s99, s99
; %bb.2603:                             ;   in Loop: Header=BB0_7 Depth=1
	s_delay_alu instid0(VALU_DEP_1)
	v_add_nc_u32_e32 v1, 0x34000000, v1
; %bb.2604:                             ;   in Loop: Header=BB0_7 Depth=1
	s_or_b32 exec_lo, exec_lo, s99
.LBB0_2605:                             ;   in Loop: Header=BB0_7 Depth=1
	s_and_not1_saveexec_b32 s98, s98
; %bb.2606:                             ;   in Loop: Header=BB0_7 Depth=1
	s_delay_alu instid0(VALU_DEP_1)
	v_add_nc_u32_e32 v1, 0x38000000, v1
; %bb.2607:                             ;   in Loop: Header=BB0_7 Depth=1
	s_or_b32 exec_lo, exec_lo, s98
.LBB0_2608:                             ;   in Loop: Header=BB0_7 Depth=1
	s_and_not1_saveexec_b32 s97, s97
; %bb.2609:                             ;   in Loop: Header=BB0_7 Depth=1
	s_delay_alu instid0(VALU_DEP_1)
	v_add_nc_u32_e32 v1, 0x3c000000, v1
; %bb.2610:                             ;   in Loop: Header=BB0_7 Depth=1
	s_or_b32 exec_lo, exec_lo, s97
.LBB0_2611:                             ;   in Loop: Header=BB0_7 Depth=1
	s_and_not1_saveexec_b32 s96, s96
; %bb.2612:                             ;   in Loop: Header=BB0_7 Depth=1
	s_delay_alu instid0(VALU_DEP_1)
	v_add_nc_u32_e32 v1, 2.0, v1
; %bb.2613:                             ;   in Loop: Header=BB0_7 Depth=1
	s_or_b32 exec_lo, exec_lo, s96
.LBB0_2614:                             ;   in Loop: Header=BB0_7 Depth=1
	s_and_not1_saveexec_b32 s95, s95
; %bb.2615:                             ;   in Loop: Header=BB0_7 Depth=1
	s_delay_alu instid0(VALU_DEP_1)
	v_add_nc_u32_e32 v1, 0x44000000, v1
; %bb.2616:                             ;   in Loop: Header=BB0_7 Depth=1
	s_or_b32 exec_lo, exec_lo, s95
.LBB0_2617:                             ;   in Loop: Header=BB0_7 Depth=1
	s_and_not1_saveexec_b32 s94, s94
; %bb.2618:                             ;   in Loop: Header=BB0_7 Depth=1
	s_delay_alu instid0(VALU_DEP_1)
	v_add_nc_u32_e32 v1, 0x48000000, v1
; %bb.2619:                             ;   in Loop: Header=BB0_7 Depth=1
	s_or_b32 exec_lo, exec_lo, s94
.LBB0_2620:                             ;   in Loop: Header=BB0_7 Depth=1
	s_and_not1_saveexec_b32 s93, s93
; %bb.2621:                             ;   in Loop: Header=BB0_7 Depth=1
	s_delay_alu instid0(VALU_DEP_1)
	v_add_nc_u32_e32 v1, 0x4c000000, v1
; %bb.2622:                             ;   in Loop: Header=BB0_7 Depth=1
	s_or_b32 exec_lo, exec_lo, s93
.LBB0_2623:                             ;   in Loop: Header=BB0_7 Depth=1
	s_and_not1_saveexec_b32 s92, s92
; %bb.2624:                             ;   in Loop: Header=BB0_7 Depth=1
	s_delay_alu instid0(VALU_DEP_1)
	v_add_nc_u32_e32 v1, 0x50000000, v1
; %bb.2625:                             ;   in Loop: Header=BB0_7 Depth=1
	s_or_b32 exec_lo, exec_lo, s92
.LBB0_2626:                             ;   in Loop: Header=BB0_7 Depth=1
	s_and_not1_saveexec_b32 s91, s91
; %bb.2627:                             ;   in Loop: Header=BB0_7 Depth=1
	s_delay_alu instid0(VALU_DEP_1)
	v_add_nc_u32_e32 v1, 0x54000000, v1
; %bb.2628:                             ;   in Loop: Header=BB0_7 Depth=1
	s_or_b32 exec_lo, exec_lo, s91
.LBB0_2629:                             ;   in Loop: Header=BB0_7 Depth=1
	s_and_not1_saveexec_b32 s90, s90
; %bb.2630:                             ;   in Loop: Header=BB0_7 Depth=1
	s_delay_alu instid0(VALU_DEP_1)
	v_add_nc_u32_e32 v1, 0x58000000, v1
; %bb.2631:                             ;   in Loop: Header=BB0_7 Depth=1
	s_or_b32 exec_lo, exec_lo, s90
.LBB0_2632:                             ;   in Loop: Header=BB0_7 Depth=1
	s_and_not1_saveexec_b32 s89, s89
; %bb.2633:                             ;   in Loop: Header=BB0_7 Depth=1
	s_delay_alu instid0(VALU_DEP_1)
	v_add_nc_u32_e32 v1, 0x5c000000, v1
; %bb.2634:                             ;   in Loop: Header=BB0_7 Depth=1
	s_or_b32 exec_lo, exec_lo, s89
.LBB0_2635:                             ;   in Loop: Header=BB0_7 Depth=1
	s_and_not1_saveexec_b32 s88, s88
; %bb.2636:                             ;   in Loop: Header=BB0_7 Depth=1
	s_delay_alu instid0(VALU_DEP_1)
	v_add_nc_u32_e32 v1, 0x60000000, v1
; %bb.2637:                             ;   in Loop: Header=BB0_7 Depth=1
	s_or_b32 exec_lo, exec_lo, s88
.LBB0_2638:                             ;   in Loop: Header=BB0_7 Depth=1
	s_and_not1_saveexec_b32 s87, s87
; %bb.2639:                             ;   in Loop: Header=BB0_7 Depth=1
	s_delay_alu instid0(VALU_DEP_1)
	v_add_nc_u32_e32 v1, 0x64000000, v1
; %bb.2640:                             ;   in Loop: Header=BB0_7 Depth=1
	s_or_b32 exec_lo, exec_lo, s87
.LBB0_2641:                             ;   in Loop: Header=BB0_7 Depth=1
	s_and_not1_saveexec_b32 s86, s86
; %bb.2642:                             ;   in Loop: Header=BB0_7 Depth=1
	s_delay_alu instid0(VALU_DEP_1)
	v_add_nc_u32_e32 v1, 0x68000000, v1
; %bb.2643:                             ;   in Loop: Header=BB0_7 Depth=1
	s_or_b32 exec_lo, exec_lo, s86
.LBB0_2644:                             ;   in Loop: Header=BB0_7 Depth=1
	s_and_not1_saveexec_b32 s85, s85
; %bb.2645:                             ;   in Loop: Header=BB0_7 Depth=1
	s_delay_alu instid0(VALU_DEP_1)
	v_add_nc_u32_e32 v1, 0x6c000000, v1
; %bb.2646:                             ;   in Loop: Header=BB0_7 Depth=1
	s_or_b32 exec_lo, exec_lo, s85
.LBB0_2647:                             ;   in Loop: Header=BB0_7 Depth=1
	s_and_not1_saveexec_b32 s84, s84
; %bb.2648:                             ;   in Loop: Header=BB0_7 Depth=1
	s_delay_alu instid0(VALU_DEP_1)
	v_add_nc_u32_e32 v1, 0x70000000, v1
; %bb.2649:                             ;   in Loop: Header=BB0_7 Depth=1
	s_or_b32 exec_lo, exec_lo, s84
.LBB0_2650:                             ;   in Loop: Header=BB0_7 Depth=1
	s_and_not1_saveexec_b32 s83, s83
; %bb.2651:                             ;   in Loop: Header=BB0_7 Depth=1
	s_delay_alu instid0(VALU_DEP_1)
	v_add_nc_u32_e32 v1, 0x74000000, v1
; %bb.2652:                             ;   in Loop: Header=BB0_7 Depth=1
	s_or_b32 exec_lo, exec_lo, s83
.LBB0_2653:                             ;   in Loop: Header=BB0_7 Depth=1
	s_and_not1_saveexec_b32 s82, s82
; %bb.2654:                             ;   in Loop: Header=BB0_7 Depth=1
	s_delay_alu instid0(VALU_DEP_1)
	v_add_nc_u32_e32 v1, 0x78000000, v1
; %bb.2655:                             ;   in Loop: Header=BB0_7 Depth=1
	s_or_b32 exec_lo, exec_lo, s82
.LBB0_2656:                             ;   in Loop: Header=BB0_7 Depth=1
	s_and_not1_saveexec_b32 s81, s81
; %bb.2657:                             ;   in Loop: Header=BB0_7 Depth=1
	s_delay_alu instid0(VALU_DEP_1)
	v_add_nc_u32_e32 v1, 0x7c000000, v1
; %bb.2658:                             ;   in Loop: Header=BB0_7 Depth=1
	s_or_b32 exec_lo, exec_lo, s81
.LBB0_2659:                             ;   in Loop: Header=BB0_7 Depth=1
	s_delay_alu instid0(SALU_CYCLE_1)
	s_or_b32 exec_lo, exec_lo, s80
	v_lshl_add_u32 v8, s63, 12, v10
	v_mov_b32_e32 v11, 0x7c
	s_or_b32 s80, s33, 24
	s_mov_b32 s63, exec_lo
	global_store_b32 v8, v1, s[34:35] scale_offset
	s_wait_xcnt 0x0
	v_cmpx_lt_u32_e64 s80, v0
	s_cbranch_execz .LBB0_2723
; %bb.2660:                             ;   in Loop: Header=BB0_7 Depth=1
	s_add_co_i32 s81, s62, 0
	v_mov_b32_e32 v11, 0x7c
	v_mov_b32_e32 v1, s81
	s_mov_b32 s81, exec_lo
	ds_load_2addr_b64 v[12:15], v1 offset0:72 offset1:73
	ds_load_b64 v[16:17], v1 offset:592
	s_wait_dscnt 0x1
	v_mul_f64_e32 v[8:9], v[4:5], v[14:15]
	s_delay_alu instid0(VALU_DEP_1) | instskip(SKIP_1) | instid1(VALU_DEP_1)
	v_fmac_f64_e32 v[8:9], v[2:3], v[12:13]
	s_wait_dscnt 0x0
	v_fmac_f64_e32 v[8:9], v[6:7], v[16:17]
	s_delay_alu instid0(VALU_DEP_1)
	v_cmpx_ngt_f64_e32 s[60:61], v[8:9]
	s_cbranch_execz .LBB0_2722
; %bb.2661:                             ;   in Loop: Header=BB0_7 Depth=1
	v_mov_b32_e32 v11, 0x78
	s_mov_b32 s82, exec_lo
	v_cmpx_ngt_f64_e32 s[66:67], v[8:9]
	s_cbranch_execz .LBB0_2721
; %bb.2662:                             ;   in Loop: Header=BB0_7 Depth=1
	v_mov_b32_e32 v11, 0x74
	s_mov_b32 s83, exec_lo
	;; [unrolled: 5-line block ×21, first 2 shown]
	v_cmpx_ngt_f64_e32 s[18:19], v[8:9]
	s_cbranch_execz .LBB0_2701
; %bb.2682:                             ;   in Loop: Header=BB0_7 Depth=1
	v_mov_b32_e32 v11, 36
	v_cmp_ngt_f64_e32 vcc_lo, s[16:17], v[8:9]
	s_mov_b32 vcc_hi, exec_lo
	s_delay_alu instid0(SALU_CYCLE_1)
	s_and_b32 vcc_lo, vcc_hi, vcc_lo
	v_writelane_b32 v18, vcc_hi, 0
	s_mov_b32 exec_lo, vcc_lo
	s_cbranch_execz .LBB0_2700
; %bb.2683:                             ;   in Loop: Header=BB0_7 Depth=1
	v_mov_b32_e32 v11, 32
	v_cmp_ngt_f64_e32 vcc_lo, s[50:51], v[8:9]
	s_mov_b32 vcc_hi, exec_lo
	s_delay_alu instid0(SALU_CYCLE_1)
	s_and_b32 vcc_lo, vcc_hi, vcc_lo
	v_writelane_b32 v18, vcc_hi, 1
	s_mov_b32 exec_lo, vcc_lo
	;; [unrolled: 9-line block ×8, first 2 shown]
	s_cbranch_execz .LBB0_2693
; %bb.2690:                             ;   in Loop: Header=BB0_7 Depth=1
	v_mov_b32_e32 v11, 0
	s_mov_b32 vcc_hi, exec_lo
	v_cmpx_gt_f64_e32 s[36:37], v[8:9]
; %bb.2691:                             ;   in Loop: Header=BB0_7 Depth=1
	v_mov_b32_e32 v11, 4
; %bb.2692:                             ;   in Loop: Header=BB0_7 Depth=1
	s_or_b32 exec_lo, exec_lo, vcc_hi
.LBB0_2693:                             ;   in Loop: Header=BB0_7 Depth=1
	s_delay_alu instid0(VALU_DEP_1)
	v_readlane_b32 vcc_lo, v18, 8
	s_or_b32 exec_lo, exec_lo, vcc_lo
.LBB0_2694:                             ;   in Loop: Header=BB0_7 Depth=1
	s_delay_alu instid0(VALU_DEP_1)
	v_readlane_b32 vcc_lo, v18, 6
	s_or_b32 exec_lo, exec_lo, vcc_lo
.LBB0_2695:                             ;   in Loop: Header=BB0_7 Depth=1
	s_delay_alu instid0(VALU_DEP_1)
	v_readlane_b32 vcc_lo, v18, 5
	s_or_b32 exec_lo, exec_lo, vcc_lo
.LBB0_2696:                             ;   in Loop: Header=BB0_7 Depth=1
	s_delay_alu instid0(VALU_DEP_1)
	v_readlane_b32 vcc_lo, v18, 4
	s_or_b32 exec_lo, exec_lo, vcc_lo
.LBB0_2697:                             ;   in Loop: Header=BB0_7 Depth=1
	s_delay_alu instid0(VALU_DEP_1)
	v_readlane_b32 vcc_lo, v18, 3
	s_or_b32 exec_lo, exec_lo, vcc_lo
.LBB0_2698:                             ;   in Loop: Header=BB0_7 Depth=1
	s_delay_alu instid0(VALU_DEP_1)
	v_readlane_b32 vcc_lo, v18, 2
	s_or_b32 exec_lo, exec_lo, vcc_lo
.LBB0_2699:                             ;   in Loop: Header=BB0_7 Depth=1
	s_delay_alu instid0(VALU_DEP_1)
	v_readlane_b32 vcc_lo, v18, 1
	s_or_b32 exec_lo, exec_lo, vcc_lo
.LBB0_2700:                             ;   in Loop: Header=BB0_7 Depth=1
	s_delay_alu instid0(VALU_DEP_1)
	v_readlane_b32 vcc_lo, v18, 0
	s_or_b32 exec_lo, exec_lo, vcc_lo
.LBB0_2701:                             ;   in Loop: Header=BB0_7 Depth=1
	s_delay_alu instid0(SALU_CYCLE_1)
	s_or_b32 exec_lo, exec_lo, s104
.LBB0_2702:                             ;   in Loop: Header=BB0_7 Depth=1
	s_delay_alu instid0(SALU_CYCLE_1)
	s_or_b32 exec_lo, exec_lo, s101
.LBB0_2703:                             ;   in Loop: Header=BB0_7 Depth=1
	s_delay_alu instid0(SALU_CYCLE_1)
	s_or_b32 exec_lo, exec_lo, s100
.LBB0_2704:                             ;   in Loop: Header=BB0_7 Depth=1
	s_delay_alu instid0(SALU_CYCLE_1)
	s_or_b32 exec_lo, exec_lo, s99
.LBB0_2705:                             ;   in Loop: Header=BB0_7 Depth=1
	s_delay_alu instid0(SALU_CYCLE_1)
	s_or_b32 exec_lo, exec_lo, s98
.LBB0_2706:                             ;   in Loop: Header=BB0_7 Depth=1
	s_delay_alu instid0(SALU_CYCLE_1)
	s_or_b32 exec_lo, exec_lo, s97
.LBB0_2707:                             ;   in Loop: Header=BB0_7 Depth=1
	s_delay_alu instid0(SALU_CYCLE_1)
	s_or_b32 exec_lo, exec_lo, s96
.LBB0_2708:                             ;   in Loop: Header=BB0_7 Depth=1
	s_delay_alu instid0(SALU_CYCLE_1)
	s_or_b32 exec_lo, exec_lo, s95
.LBB0_2709:                             ;   in Loop: Header=BB0_7 Depth=1
	s_delay_alu instid0(SALU_CYCLE_1)
	s_or_b32 exec_lo, exec_lo, s94
.LBB0_2710:                             ;   in Loop: Header=BB0_7 Depth=1
	s_delay_alu instid0(SALU_CYCLE_1)
	s_or_b32 exec_lo, exec_lo, s93
.LBB0_2711:                             ;   in Loop: Header=BB0_7 Depth=1
	s_delay_alu instid0(SALU_CYCLE_1)
	s_or_b32 exec_lo, exec_lo, s92
.LBB0_2712:                             ;   in Loop: Header=BB0_7 Depth=1
	s_delay_alu instid0(SALU_CYCLE_1)
	s_or_b32 exec_lo, exec_lo, s91
.LBB0_2713:                             ;   in Loop: Header=BB0_7 Depth=1
	s_delay_alu instid0(SALU_CYCLE_1)
	s_or_b32 exec_lo, exec_lo, s90
.LBB0_2714:                             ;   in Loop: Header=BB0_7 Depth=1
	s_delay_alu instid0(SALU_CYCLE_1)
	s_or_b32 exec_lo, exec_lo, s89
.LBB0_2715:                             ;   in Loop: Header=BB0_7 Depth=1
	s_delay_alu instid0(SALU_CYCLE_1)
	s_or_b32 exec_lo, exec_lo, s88
.LBB0_2716:                             ;   in Loop: Header=BB0_7 Depth=1
	s_delay_alu instid0(SALU_CYCLE_1)
	s_or_b32 exec_lo, exec_lo, s87
.LBB0_2717:                             ;   in Loop: Header=BB0_7 Depth=1
	s_delay_alu instid0(SALU_CYCLE_1)
	s_or_b32 exec_lo, exec_lo, s86
.LBB0_2718:                             ;   in Loop: Header=BB0_7 Depth=1
	s_delay_alu instid0(SALU_CYCLE_1)
	s_or_b32 exec_lo, exec_lo, s85
.LBB0_2719:                             ;   in Loop: Header=BB0_7 Depth=1
	s_delay_alu instid0(SALU_CYCLE_1)
	s_or_b32 exec_lo, exec_lo, s84
.LBB0_2720:                             ;   in Loop: Header=BB0_7 Depth=1
	s_delay_alu instid0(SALU_CYCLE_1)
	s_or_b32 exec_lo, exec_lo, s83
.LBB0_2721:                             ;   in Loop: Header=BB0_7 Depth=1
	s_delay_alu instid0(SALU_CYCLE_1)
	s_or_b32 exec_lo, exec_lo, s82
.LBB0_2722:                             ;   in Loop: Header=BB0_7 Depth=1
	s_delay_alu instid0(SALU_CYCLE_1)
	s_or_b32 exec_lo, exec_lo, s81
.LBB0_2723:                             ;   in Loop: Header=BB0_7 Depth=1
	s_delay_alu instid0(SALU_CYCLE_1) | instskip(SKIP_1) | instid1(SALU_CYCLE_1)
	s_or_b32 exec_lo, exec_lo, s63
	s_or_b32 s63, s33, 25
	v_cmp_ge_u32_e32 vcc_lo, s63, v0
	s_and_saveexec_b32 s63, vcc_lo
	s_delay_alu instid0(SALU_CYCLE_1)
	s_xor_b32 s63, exec_lo, s63
; %bb.2724:                             ;   in Loop: Header=BB0_7 Depth=1
	v_or_b32_e32 v11, 0x7c00, v11
; %bb.2725:                             ;   in Loop: Header=BB0_7 Depth=1
	s_and_not1_saveexec_b32 s63, s63
	s_cbranch_execz .LBB0_2849
; %bb.2726:                             ;   in Loop: Header=BB0_7 Depth=1
	s_add_co_i32 s81, s62, 0
	s_delay_alu instid0(SALU_CYCLE_1)
	v_mov_b32_e32 v1, s81
	s_mov_b32 s81, exec_lo
	ds_load_2addr_b64 v[12:15], v1 offset0:75 offset1:76
	ds_load_b64 v[16:17], v1 offset:616
	s_wait_dscnt 0x1
	v_mul_f64_e32 v[8:9], v[4:5], v[14:15]
	s_delay_alu instid0(VALU_DEP_1) | instskip(SKIP_1) | instid1(VALU_DEP_1)
	v_fmac_f64_e32 v[8:9], v[2:3], v[12:13]
	s_wait_dscnt 0x0
	v_fmac_f64_e32 v[8:9], v[6:7], v[16:17]
	s_delay_alu instid0(VALU_DEP_1)
	v_cmpx_ngt_f64_e32 s[60:61], v[8:9]
	s_xor_b32 s81, exec_lo, s81
	s_cbranch_execz .LBB0_2846
; %bb.2727:                             ;   in Loop: Header=BB0_7 Depth=1
	s_mov_b32 s82, exec_lo
	v_cmpx_ngt_f64_e32 s[66:67], v[8:9]
	s_xor_b32 s82, exec_lo, s82
	s_cbranch_execz .LBB0_2843
; %bb.2728:                             ;   in Loop: Header=BB0_7 Depth=1
	s_mov_b32 s83, exec_lo
	;; [unrolled: 5-line block ×21, first 2 shown]
	v_cmpx_ngt_f64_e32 s[18:19], v[8:9]
	s_xor_b32 s104, exec_lo, s104
	s_cbranch_execz .LBB0_2783
; %bb.2748:                             ;   in Loop: Header=BB0_7 Depth=1
	s_mov_b32 vcc_hi, exec_lo
	v_cmpx_ngt_f64_e32 s[16:17], v[8:9]
	s_xor_b32 vcc_hi, exec_lo, vcc_hi
	s_delay_alu instid0(SALU_CYCLE_1)
	v_writelane_b32 v18, vcc_hi, 0
	s_cbranch_execz .LBB0_2780
; %bb.2749:                             ;   in Loop: Header=BB0_7 Depth=1
	s_mov_b32 vcc_hi, exec_lo
	v_cmpx_ngt_f64_e32 s[50:51], v[8:9]
	s_xor_b32 vcc_hi, exec_lo, vcc_hi
	s_delay_alu instid0(SALU_CYCLE_1)
	v_writelane_b32 v18, vcc_hi, 1
	;; [unrolled: 7-line block ×8, first 2 shown]
	s_cbranch_execz .LBB0_2759
; %bb.2756:                             ;   in Loop: Header=BB0_7 Depth=1
	s_mov_b32 vcc_lo, exec_lo
	v_cmpx_gt_f64_e32 s[36:37], v[8:9]
; %bb.2757:                             ;   in Loop: Header=BB0_7 Depth=1
	v_or_b32_e32 v11, 0x400, v11
; %bb.2758:                             ;   in Loop: Header=BB0_7 Depth=1
	s_or_b32 exec_lo, exec_lo, vcc_lo
.LBB0_2759:                             ;   in Loop: Header=BB0_7 Depth=1
	s_delay_alu instid0(VALU_DEP_1)
	v_readlane_b32 vcc_lo, v18, 8
	s_and_not1_saveexec_b32 vcc_lo, vcc_lo
; %bb.2760:                             ;   in Loop: Header=BB0_7 Depth=1
	v_or_b32_e32 v11, 0x800, v11
; %bb.2761:                             ;   in Loop: Header=BB0_7 Depth=1
	s_or_b32 exec_lo, exec_lo, vcc_lo
.LBB0_2762:                             ;   in Loop: Header=BB0_7 Depth=1
	s_delay_alu instid0(VALU_DEP_1)
	v_readlane_b32 vcc_lo, v18, 6
	s_and_not1_saveexec_b32 vcc_lo, vcc_lo
; %bb.2763:                             ;   in Loop: Header=BB0_7 Depth=1
	v_or_b32_e32 v11, 0xc00, v11
; %bb.2764:                             ;   in Loop: Header=BB0_7 Depth=1
	s_or_b32 exec_lo, exec_lo, vcc_lo
.LBB0_2765:                             ;   in Loop: Header=BB0_7 Depth=1
	s_delay_alu instid0(VALU_DEP_1)
	v_readlane_b32 vcc_lo, v18, 5
	s_and_not1_saveexec_b32 vcc_lo, vcc_lo
; %bb.2766:                             ;   in Loop: Header=BB0_7 Depth=1
	v_or_b32_e32 v11, 0x1000, v11
; %bb.2767:                             ;   in Loop: Header=BB0_7 Depth=1
	s_or_b32 exec_lo, exec_lo, vcc_lo
.LBB0_2768:                             ;   in Loop: Header=BB0_7 Depth=1
	s_delay_alu instid0(VALU_DEP_1)
	v_readlane_b32 vcc_lo, v18, 4
	s_and_not1_saveexec_b32 vcc_lo, vcc_lo
; %bb.2769:                             ;   in Loop: Header=BB0_7 Depth=1
	v_or_b32_e32 v11, 0x1400, v11
; %bb.2770:                             ;   in Loop: Header=BB0_7 Depth=1
	s_or_b32 exec_lo, exec_lo, vcc_lo
.LBB0_2771:                             ;   in Loop: Header=BB0_7 Depth=1
	s_delay_alu instid0(VALU_DEP_1)
	v_readlane_b32 vcc_lo, v18, 3
	s_and_not1_saveexec_b32 vcc_lo, vcc_lo
; %bb.2772:                             ;   in Loop: Header=BB0_7 Depth=1
	v_or_b32_e32 v11, 0x1800, v11
; %bb.2773:                             ;   in Loop: Header=BB0_7 Depth=1
	s_or_b32 exec_lo, exec_lo, vcc_lo
.LBB0_2774:                             ;   in Loop: Header=BB0_7 Depth=1
	s_delay_alu instid0(VALU_DEP_1)
	v_readlane_b32 vcc_lo, v18, 2
	s_and_not1_saveexec_b32 vcc_lo, vcc_lo
; %bb.2775:                             ;   in Loop: Header=BB0_7 Depth=1
	v_or_b32_e32 v11, 0x1c00, v11
; %bb.2776:                             ;   in Loop: Header=BB0_7 Depth=1
	s_or_b32 exec_lo, exec_lo, vcc_lo
.LBB0_2777:                             ;   in Loop: Header=BB0_7 Depth=1
	s_delay_alu instid0(VALU_DEP_1)
	v_readlane_b32 vcc_lo, v18, 1
	s_and_not1_saveexec_b32 vcc_lo, vcc_lo
; %bb.2778:                             ;   in Loop: Header=BB0_7 Depth=1
	v_or_b32_e32 v11, 0x2000, v11
; %bb.2779:                             ;   in Loop: Header=BB0_7 Depth=1
	s_or_b32 exec_lo, exec_lo, vcc_lo
.LBB0_2780:                             ;   in Loop: Header=BB0_7 Depth=1
	s_delay_alu instid0(VALU_DEP_1)
	v_readlane_b32 vcc_lo, v18, 0
	s_and_not1_saveexec_b32 vcc_lo, vcc_lo
; %bb.2781:                             ;   in Loop: Header=BB0_7 Depth=1
	v_or_b32_e32 v11, 0x2400, v11
; %bb.2782:                             ;   in Loop: Header=BB0_7 Depth=1
	s_or_b32 exec_lo, exec_lo, vcc_lo
.LBB0_2783:                             ;   in Loop: Header=BB0_7 Depth=1
	s_and_not1_saveexec_b32 s104, s104
; %bb.2784:                             ;   in Loop: Header=BB0_7 Depth=1
	s_delay_alu instid0(VALU_DEP_1)
	v_or_b32_e32 v11, 0x2800, v11
; %bb.2785:                             ;   in Loop: Header=BB0_7 Depth=1
	s_or_b32 exec_lo, exec_lo, s104
.LBB0_2786:                             ;   in Loop: Header=BB0_7 Depth=1
	s_and_not1_saveexec_b32 s101, s101
; %bb.2787:                             ;   in Loop: Header=BB0_7 Depth=1
	s_delay_alu instid0(VALU_DEP_1)
	v_or_b32_e32 v11, 0x2c00, v11
; %bb.2788:                             ;   in Loop: Header=BB0_7 Depth=1
	s_or_b32 exec_lo, exec_lo, s101
.LBB0_2789:                             ;   in Loop: Header=BB0_7 Depth=1
	s_and_not1_saveexec_b32 s100, s100
; %bb.2790:                             ;   in Loop: Header=BB0_7 Depth=1
	s_delay_alu instid0(VALU_DEP_1)
	v_or_b32_e32 v11, 0x3000, v11
; %bb.2791:                             ;   in Loop: Header=BB0_7 Depth=1
	s_or_b32 exec_lo, exec_lo, s100
.LBB0_2792:                             ;   in Loop: Header=BB0_7 Depth=1
	s_and_not1_saveexec_b32 s99, s99
; %bb.2793:                             ;   in Loop: Header=BB0_7 Depth=1
	s_delay_alu instid0(VALU_DEP_1)
	v_or_b32_e32 v11, 0x3400, v11
; %bb.2794:                             ;   in Loop: Header=BB0_7 Depth=1
	s_or_b32 exec_lo, exec_lo, s99
.LBB0_2795:                             ;   in Loop: Header=BB0_7 Depth=1
	s_and_not1_saveexec_b32 s98, s98
; %bb.2796:                             ;   in Loop: Header=BB0_7 Depth=1
	s_delay_alu instid0(VALU_DEP_1)
	v_or_b32_e32 v11, 0x3800, v11
; %bb.2797:                             ;   in Loop: Header=BB0_7 Depth=1
	s_or_b32 exec_lo, exec_lo, s98
.LBB0_2798:                             ;   in Loop: Header=BB0_7 Depth=1
	s_and_not1_saveexec_b32 s97, s97
; %bb.2799:                             ;   in Loop: Header=BB0_7 Depth=1
	s_delay_alu instid0(VALU_DEP_1)
	v_or_b32_e32 v11, 0x3c00, v11
; %bb.2800:                             ;   in Loop: Header=BB0_7 Depth=1
	s_or_b32 exec_lo, exec_lo, s97
.LBB0_2801:                             ;   in Loop: Header=BB0_7 Depth=1
	s_and_not1_saveexec_b32 s96, s96
; %bb.2802:                             ;   in Loop: Header=BB0_7 Depth=1
	s_delay_alu instid0(VALU_DEP_1)
	v_or_b32_e32 v11, 0x4000, v11
; %bb.2803:                             ;   in Loop: Header=BB0_7 Depth=1
	s_or_b32 exec_lo, exec_lo, s96
.LBB0_2804:                             ;   in Loop: Header=BB0_7 Depth=1
	s_and_not1_saveexec_b32 s95, s95
; %bb.2805:                             ;   in Loop: Header=BB0_7 Depth=1
	s_delay_alu instid0(VALU_DEP_1)
	v_or_b32_e32 v11, 0x4400, v11
; %bb.2806:                             ;   in Loop: Header=BB0_7 Depth=1
	s_or_b32 exec_lo, exec_lo, s95
.LBB0_2807:                             ;   in Loop: Header=BB0_7 Depth=1
	s_and_not1_saveexec_b32 s94, s94
; %bb.2808:                             ;   in Loop: Header=BB0_7 Depth=1
	s_delay_alu instid0(VALU_DEP_1)
	v_or_b32_e32 v11, 0x4800, v11
; %bb.2809:                             ;   in Loop: Header=BB0_7 Depth=1
	s_or_b32 exec_lo, exec_lo, s94
.LBB0_2810:                             ;   in Loop: Header=BB0_7 Depth=1
	s_and_not1_saveexec_b32 s93, s93
; %bb.2811:                             ;   in Loop: Header=BB0_7 Depth=1
	s_delay_alu instid0(VALU_DEP_1)
	v_or_b32_e32 v11, 0x4c00, v11
; %bb.2812:                             ;   in Loop: Header=BB0_7 Depth=1
	s_or_b32 exec_lo, exec_lo, s93
.LBB0_2813:                             ;   in Loop: Header=BB0_7 Depth=1
	s_and_not1_saveexec_b32 s92, s92
; %bb.2814:                             ;   in Loop: Header=BB0_7 Depth=1
	s_delay_alu instid0(VALU_DEP_1)
	v_or_b32_e32 v11, 0x5000, v11
; %bb.2815:                             ;   in Loop: Header=BB0_7 Depth=1
	s_or_b32 exec_lo, exec_lo, s92
.LBB0_2816:                             ;   in Loop: Header=BB0_7 Depth=1
	s_and_not1_saveexec_b32 s91, s91
; %bb.2817:                             ;   in Loop: Header=BB0_7 Depth=1
	s_delay_alu instid0(VALU_DEP_1)
	v_or_b32_e32 v11, 0x5400, v11
; %bb.2818:                             ;   in Loop: Header=BB0_7 Depth=1
	s_or_b32 exec_lo, exec_lo, s91
.LBB0_2819:                             ;   in Loop: Header=BB0_7 Depth=1
	s_and_not1_saveexec_b32 s90, s90
; %bb.2820:                             ;   in Loop: Header=BB0_7 Depth=1
	s_delay_alu instid0(VALU_DEP_1)
	v_or_b32_e32 v11, 0x5800, v11
; %bb.2821:                             ;   in Loop: Header=BB0_7 Depth=1
	s_or_b32 exec_lo, exec_lo, s90
.LBB0_2822:                             ;   in Loop: Header=BB0_7 Depth=1
	s_and_not1_saveexec_b32 s89, s89
; %bb.2823:                             ;   in Loop: Header=BB0_7 Depth=1
	s_delay_alu instid0(VALU_DEP_1)
	v_or_b32_e32 v11, 0x5c00, v11
; %bb.2824:                             ;   in Loop: Header=BB0_7 Depth=1
	s_or_b32 exec_lo, exec_lo, s89
.LBB0_2825:                             ;   in Loop: Header=BB0_7 Depth=1
	s_and_not1_saveexec_b32 s88, s88
; %bb.2826:                             ;   in Loop: Header=BB0_7 Depth=1
	s_delay_alu instid0(VALU_DEP_1)
	v_or_b32_e32 v11, 0x6000, v11
; %bb.2827:                             ;   in Loop: Header=BB0_7 Depth=1
	s_or_b32 exec_lo, exec_lo, s88
.LBB0_2828:                             ;   in Loop: Header=BB0_7 Depth=1
	s_and_not1_saveexec_b32 s87, s87
; %bb.2829:                             ;   in Loop: Header=BB0_7 Depth=1
	s_delay_alu instid0(VALU_DEP_1)
	v_or_b32_e32 v11, 0x6400, v11
; %bb.2830:                             ;   in Loop: Header=BB0_7 Depth=1
	s_or_b32 exec_lo, exec_lo, s87
.LBB0_2831:                             ;   in Loop: Header=BB0_7 Depth=1
	s_and_not1_saveexec_b32 s86, s86
; %bb.2832:                             ;   in Loop: Header=BB0_7 Depth=1
	s_delay_alu instid0(VALU_DEP_1)
	v_or_b32_e32 v11, 0x6800, v11
; %bb.2833:                             ;   in Loop: Header=BB0_7 Depth=1
	s_or_b32 exec_lo, exec_lo, s86
.LBB0_2834:                             ;   in Loop: Header=BB0_7 Depth=1
	s_and_not1_saveexec_b32 s85, s85
; %bb.2835:                             ;   in Loop: Header=BB0_7 Depth=1
	s_delay_alu instid0(VALU_DEP_1)
	v_or_b32_e32 v11, 0x6c00, v11
; %bb.2836:                             ;   in Loop: Header=BB0_7 Depth=1
	s_or_b32 exec_lo, exec_lo, s85
.LBB0_2837:                             ;   in Loop: Header=BB0_7 Depth=1
	s_and_not1_saveexec_b32 s84, s84
; %bb.2838:                             ;   in Loop: Header=BB0_7 Depth=1
	s_delay_alu instid0(VALU_DEP_1)
	v_or_b32_e32 v11, 0x7000, v11
; %bb.2839:                             ;   in Loop: Header=BB0_7 Depth=1
	s_or_b32 exec_lo, exec_lo, s84
.LBB0_2840:                             ;   in Loop: Header=BB0_7 Depth=1
	s_and_not1_saveexec_b32 s83, s83
; %bb.2841:                             ;   in Loop: Header=BB0_7 Depth=1
	s_delay_alu instid0(VALU_DEP_1)
	v_or_b32_e32 v11, 0x7400, v11
; %bb.2842:                             ;   in Loop: Header=BB0_7 Depth=1
	s_or_b32 exec_lo, exec_lo, s83
.LBB0_2843:                             ;   in Loop: Header=BB0_7 Depth=1
	s_and_not1_saveexec_b32 s82, s82
; %bb.2844:                             ;   in Loop: Header=BB0_7 Depth=1
	s_delay_alu instid0(VALU_DEP_1)
	v_or_b32_e32 v11, 0x7800, v11
; %bb.2845:                             ;   in Loop: Header=BB0_7 Depth=1
	s_or_b32 exec_lo, exec_lo, s82
.LBB0_2846:                             ;   in Loop: Header=BB0_7 Depth=1
	s_and_not1_saveexec_b32 s81, s81
; %bb.2847:                             ;   in Loop: Header=BB0_7 Depth=1
	s_delay_alu instid0(VALU_DEP_1)
	v_or_b32_e32 v11, 0x7c00, v11
; %bb.2848:                             ;   in Loop: Header=BB0_7 Depth=1
	s_or_b32 exec_lo, exec_lo, s81
.LBB0_2849:                             ;   in Loop: Header=BB0_7 Depth=1
	s_delay_alu instid0(SALU_CYCLE_1) | instskip(SKIP_1) | instid1(SALU_CYCLE_1)
	s_or_b32 exec_lo, exec_lo, s63
	s_or_b32 s63, s33, 26
	v_cmp_ge_u32_e32 vcc_lo, s63, v0
	s_and_saveexec_b32 s63, vcc_lo
	s_delay_alu instid0(SALU_CYCLE_1)
	s_xor_b32 s63, exec_lo, s63
; %bb.2850:                             ;   in Loop: Header=BB0_7 Depth=1
	v_add_nc_u32_e32 v11, 0x7c0000, v11
; %bb.2851:                             ;   in Loop: Header=BB0_7 Depth=1
	s_and_not1_saveexec_b32 s63, s63
	s_cbranch_execz .LBB0_2975
; %bb.2852:                             ;   in Loop: Header=BB0_7 Depth=1
	s_add_co_i32 s81, s62, 0
	s_delay_alu instid0(SALU_CYCLE_1)
	v_mov_b32_e32 v1, s81
	s_mov_b32 s81, exec_lo
	ds_load_2addr_b64 v[12:15], v1 offset0:78 offset1:79
	ds_load_b64 v[16:17], v1 offset:640
	s_wait_dscnt 0x1
	v_mul_f64_e32 v[8:9], v[4:5], v[14:15]
	s_delay_alu instid0(VALU_DEP_1) | instskip(SKIP_1) | instid1(VALU_DEP_1)
	v_fmac_f64_e32 v[8:9], v[2:3], v[12:13]
	s_wait_dscnt 0x0
	v_fmac_f64_e32 v[8:9], v[6:7], v[16:17]
	s_delay_alu instid0(VALU_DEP_1)
	v_cmpx_ngt_f64_e32 s[60:61], v[8:9]
	s_xor_b32 s81, exec_lo, s81
	s_cbranch_execz .LBB0_2972
; %bb.2853:                             ;   in Loop: Header=BB0_7 Depth=1
	s_mov_b32 s82, exec_lo
	v_cmpx_ngt_f64_e32 s[66:67], v[8:9]
	s_xor_b32 s82, exec_lo, s82
	s_cbranch_execz .LBB0_2969
; %bb.2854:                             ;   in Loop: Header=BB0_7 Depth=1
	s_mov_b32 s83, exec_lo
	;; [unrolled: 5-line block ×21, first 2 shown]
	v_cmpx_ngt_f64_e32 s[18:19], v[8:9]
	s_xor_b32 s104, exec_lo, s104
	s_cbranch_execz .LBB0_2909
; %bb.2874:                             ;   in Loop: Header=BB0_7 Depth=1
	s_mov_b32 vcc_hi, exec_lo
	v_cmpx_ngt_f64_e32 s[16:17], v[8:9]
	s_xor_b32 vcc_hi, exec_lo, vcc_hi
	s_delay_alu instid0(SALU_CYCLE_1)
	v_writelane_b32 v18, vcc_hi, 0
	s_cbranch_execz .LBB0_2906
; %bb.2875:                             ;   in Loop: Header=BB0_7 Depth=1
	s_mov_b32 vcc_hi, exec_lo
	v_cmpx_ngt_f64_e32 s[50:51], v[8:9]
	s_xor_b32 vcc_hi, exec_lo, vcc_hi
	s_delay_alu instid0(SALU_CYCLE_1)
	v_writelane_b32 v18, vcc_hi, 1
	;; [unrolled: 7-line block ×8, first 2 shown]
	s_cbranch_execz .LBB0_2885
; %bb.2882:                             ;   in Loop: Header=BB0_7 Depth=1
	s_mov_b32 vcc_lo, exec_lo
	v_cmpx_gt_f64_e32 s[36:37], v[8:9]
; %bb.2883:                             ;   in Loop: Header=BB0_7 Depth=1
	v_add_nc_u32_e32 v11, 0x40000, v11
; %bb.2884:                             ;   in Loop: Header=BB0_7 Depth=1
	s_or_b32 exec_lo, exec_lo, vcc_lo
.LBB0_2885:                             ;   in Loop: Header=BB0_7 Depth=1
	s_delay_alu instid0(VALU_DEP_1)
	v_readlane_b32 vcc_lo, v18, 8
	s_and_not1_saveexec_b32 vcc_lo, vcc_lo
; %bb.2886:                             ;   in Loop: Header=BB0_7 Depth=1
	v_add_nc_u32_e32 v11, 0x80000, v11
; %bb.2887:                             ;   in Loop: Header=BB0_7 Depth=1
	s_or_b32 exec_lo, exec_lo, vcc_lo
.LBB0_2888:                             ;   in Loop: Header=BB0_7 Depth=1
	s_delay_alu instid0(VALU_DEP_1)
	v_readlane_b32 vcc_lo, v18, 6
	s_and_not1_saveexec_b32 vcc_lo, vcc_lo
; %bb.2889:                             ;   in Loop: Header=BB0_7 Depth=1
	v_add_nc_u32_e32 v11, 0xc0000, v11
; %bb.2890:                             ;   in Loop: Header=BB0_7 Depth=1
	s_or_b32 exec_lo, exec_lo, vcc_lo
.LBB0_2891:                             ;   in Loop: Header=BB0_7 Depth=1
	s_delay_alu instid0(VALU_DEP_1)
	v_readlane_b32 vcc_lo, v18, 5
	s_and_not1_saveexec_b32 vcc_lo, vcc_lo
; %bb.2892:                             ;   in Loop: Header=BB0_7 Depth=1
	v_add_nc_u32_e32 v11, 0x100000, v11
; %bb.2893:                             ;   in Loop: Header=BB0_7 Depth=1
	s_or_b32 exec_lo, exec_lo, vcc_lo
.LBB0_2894:                             ;   in Loop: Header=BB0_7 Depth=1
	s_delay_alu instid0(VALU_DEP_1)
	v_readlane_b32 vcc_lo, v18, 4
	s_and_not1_saveexec_b32 vcc_lo, vcc_lo
; %bb.2895:                             ;   in Loop: Header=BB0_7 Depth=1
	v_add_nc_u32_e32 v11, 0x140000, v11
; %bb.2896:                             ;   in Loop: Header=BB0_7 Depth=1
	s_or_b32 exec_lo, exec_lo, vcc_lo
.LBB0_2897:                             ;   in Loop: Header=BB0_7 Depth=1
	s_delay_alu instid0(VALU_DEP_1)
	v_readlane_b32 vcc_lo, v18, 3
	s_and_not1_saveexec_b32 vcc_lo, vcc_lo
; %bb.2898:                             ;   in Loop: Header=BB0_7 Depth=1
	v_add_nc_u32_e32 v11, 0x180000, v11
; %bb.2899:                             ;   in Loop: Header=BB0_7 Depth=1
	s_or_b32 exec_lo, exec_lo, vcc_lo
.LBB0_2900:                             ;   in Loop: Header=BB0_7 Depth=1
	s_delay_alu instid0(VALU_DEP_1)
	v_readlane_b32 vcc_lo, v18, 2
	s_and_not1_saveexec_b32 vcc_lo, vcc_lo
; %bb.2901:                             ;   in Loop: Header=BB0_7 Depth=1
	v_add_nc_u32_e32 v11, 0x1c0000, v11
; %bb.2902:                             ;   in Loop: Header=BB0_7 Depth=1
	s_or_b32 exec_lo, exec_lo, vcc_lo
.LBB0_2903:                             ;   in Loop: Header=BB0_7 Depth=1
	s_delay_alu instid0(VALU_DEP_1)
	v_readlane_b32 vcc_lo, v18, 1
	s_and_not1_saveexec_b32 vcc_lo, vcc_lo
; %bb.2904:                             ;   in Loop: Header=BB0_7 Depth=1
	v_add_nc_u32_e32 v11, 0x200000, v11
; %bb.2905:                             ;   in Loop: Header=BB0_7 Depth=1
	s_or_b32 exec_lo, exec_lo, vcc_lo
.LBB0_2906:                             ;   in Loop: Header=BB0_7 Depth=1
	s_delay_alu instid0(VALU_DEP_1)
	v_readlane_b32 vcc_lo, v18, 0
	s_and_not1_saveexec_b32 vcc_lo, vcc_lo
; %bb.2907:                             ;   in Loop: Header=BB0_7 Depth=1
	v_add_nc_u32_e32 v11, 0x240000, v11
; %bb.2908:                             ;   in Loop: Header=BB0_7 Depth=1
	s_or_b32 exec_lo, exec_lo, vcc_lo
.LBB0_2909:                             ;   in Loop: Header=BB0_7 Depth=1
	s_and_not1_saveexec_b32 s104, s104
; %bb.2910:                             ;   in Loop: Header=BB0_7 Depth=1
	s_delay_alu instid0(VALU_DEP_1)
	v_add_nc_u32_e32 v11, 0x280000, v11
; %bb.2911:                             ;   in Loop: Header=BB0_7 Depth=1
	s_or_b32 exec_lo, exec_lo, s104
.LBB0_2912:                             ;   in Loop: Header=BB0_7 Depth=1
	s_and_not1_saveexec_b32 s101, s101
; %bb.2913:                             ;   in Loop: Header=BB0_7 Depth=1
	s_delay_alu instid0(VALU_DEP_1)
	v_add_nc_u32_e32 v11, 0x2c0000, v11
; %bb.2914:                             ;   in Loop: Header=BB0_7 Depth=1
	s_or_b32 exec_lo, exec_lo, s101
.LBB0_2915:                             ;   in Loop: Header=BB0_7 Depth=1
	s_and_not1_saveexec_b32 s100, s100
; %bb.2916:                             ;   in Loop: Header=BB0_7 Depth=1
	s_delay_alu instid0(VALU_DEP_1)
	v_add_nc_u32_e32 v11, 0x300000, v11
; %bb.2917:                             ;   in Loop: Header=BB0_7 Depth=1
	s_or_b32 exec_lo, exec_lo, s100
.LBB0_2918:                             ;   in Loop: Header=BB0_7 Depth=1
	s_and_not1_saveexec_b32 s99, s99
; %bb.2919:                             ;   in Loop: Header=BB0_7 Depth=1
	s_delay_alu instid0(VALU_DEP_1)
	v_add_nc_u32_e32 v11, 0x340000, v11
; %bb.2920:                             ;   in Loop: Header=BB0_7 Depth=1
	s_or_b32 exec_lo, exec_lo, s99
.LBB0_2921:                             ;   in Loop: Header=BB0_7 Depth=1
	s_and_not1_saveexec_b32 s98, s98
; %bb.2922:                             ;   in Loop: Header=BB0_7 Depth=1
	s_delay_alu instid0(VALU_DEP_1)
	v_add_nc_u32_e32 v11, 0x380000, v11
; %bb.2923:                             ;   in Loop: Header=BB0_7 Depth=1
	s_or_b32 exec_lo, exec_lo, s98
.LBB0_2924:                             ;   in Loop: Header=BB0_7 Depth=1
	s_and_not1_saveexec_b32 s97, s97
; %bb.2925:                             ;   in Loop: Header=BB0_7 Depth=1
	s_delay_alu instid0(VALU_DEP_1)
	v_add_nc_u32_e32 v11, 0x3c0000, v11
; %bb.2926:                             ;   in Loop: Header=BB0_7 Depth=1
	s_or_b32 exec_lo, exec_lo, s97
.LBB0_2927:                             ;   in Loop: Header=BB0_7 Depth=1
	s_and_not1_saveexec_b32 s96, s96
; %bb.2928:                             ;   in Loop: Header=BB0_7 Depth=1
	s_delay_alu instid0(VALU_DEP_1)
	v_add_nc_u32_e32 v11, 0x400000, v11
; %bb.2929:                             ;   in Loop: Header=BB0_7 Depth=1
	s_or_b32 exec_lo, exec_lo, s96
.LBB0_2930:                             ;   in Loop: Header=BB0_7 Depth=1
	s_and_not1_saveexec_b32 s95, s95
; %bb.2931:                             ;   in Loop: Header=BB0_7 Depth=1
	s_delay_alu instid0(VALU_DEP_1)
	v_add_nc_u32_e32 v11, 0x440000, v11
; %bb.2932:                             ;   in Loop: Header=BB0_7 Depth=1
	s_or_b32 exec_lo, exec_lo, s95
.LBB0_2933:                             ;   in Loop: Header=BB0_7 Depth=1
	s_and_not1_saveexec_b32 s94, s94
; %bb.2934:                             ;   in Loop: Header=BB0_7 Depth=1
	s_delay_alu instid0(VALU_DEP_1)
	v_add_nc_u32_e32 v11, 0x480000, v11
; %bb.2935:                             ;   in Loop: Header=BB0_7 Depth=1
	s_or_b32 exec_lo, exec_lo, s94
.LBB0_2936:                             ;   in Loop: Header=BB0_7 Depth=1
	s_and_not1_saveexec_b32 s93, s93
; %bb.2937:                             ;   in Loop: Header=BB0_7 Depth=1
	s_delay_alu instid0(VALU_DEP_1)
	v_add_nc_u32_e32 v11, 0x4c0000, v11
; %bb.2938:                             ;   in Loop: Header=BB0_7 Depth=1
	s_or_b32 exec_lo, exec_lo, s93
.LBB0_2939:                             ;   in Loop: Header=BB0_7 Depth=1
	s_and_not1_saveexec_b32 s92, s92
; %bb.2940:                             ;   in Loop: Header=BB0_7 Depth=1
	s_delay_alu instid0(VALU_DEP_1)
	v_add_nc_u32_e32 v11, 0x500000, v11
; %bb.2941:                             ;   in Loop: Header=BB0_7 Depth=1
	s_or_b32 exec_lo, exec_lo, s92
.LBB0_2942:                             ;   in Loop: Header=BB0_7 Depth=1
	s_and_not1_saveexec_b32 s91, s91
; %bb.2943:                             ;   in Loop: Header=BB0_7 Depth=1
	s_delay_alu instid0(VALU_DEP_1)
	v_add_nc_u32_e32 v11, 0x540000, v11
; %bb.2944:                             ;   in Loop: Header=BB0_7 Depth=1
	s_or_b32 exec_lo, exec_lo, s91
.LBB0_2945:                             ;   in Loop: Header=BB0_7 Depth=1
	s_and_not1_saveexec_b32 s90, s90
; %bb.2946:                             ;   in Loop: Header=BB0_7 Depth=1
	s_delay_alu instid0(VALU_DEP_1)
	v_add_nc_u32_e32 v11, 0x580000, v11
; %bb.2947:                             ;   in Loop: Header=BB0_7 Depth=1
	s_or_b32 exec_lo, exec_lo, s90
.LBB0_2948:                             ;   in Loop: Header=BB0_7 Depth=1
	s_and_not1_saveexec_b32 s89, s89
; %bb.2949:                             ;   in Loop: Header=BB0_7 Depth=1
	s_delay_alu instid0(VALU_DEP_1)
	v_add_nc_u32_e32 v11, 0x5c0000, v11
; %bb.2950:                             ;   in Loop: Header=BB0_7 Depth=1
	s_or_b32 exec_lo, exec_lo, s89
.LBB0_2951:                             ;   in Loop: Header=BB0_7 Depth=1
	s_and_not1_saveexec_b32 s88, s88
; %bb.2952:                             ;   in Loop: Header=BB0_7 Depth=1
	s_delay_alu instid0(VALU_DEP_1)
	v_add_nc_u32_e32 v11, 0x600000, v11
; %bb.2953:                             ;   in Loop: Header=BB0_7 Depth=1
	s_or_b32 exec_lo, exec_lo, s88
.LBB0_2954:                             ;   in Loop: Header=BB0_7 Depth=1
	s_and_not1_saveexec_b32 s87, s87
; %bb.2955:                             ;   in Loop: Header=BB0_7 Depth=1
	s_delay_alu instid0(VALU_DEP_1)
	v_add_nc_u32_e32 v11, 0x640000, v11
; %bb.2956:                             ;   in Loop: Header=BB0_7 Depth=1
	s_or_b32 exec_lo, exec_lo, s87
.LBB0_2957:                             ;   in Loop: Header=BB0_7 Depth=1
	s_and_not1_saveexec_b32 s86, s86
; %bb.2958:                             ;   in Loop: Header=BB0_7 Depth=1
	s_delay_alu instid0(VALU_DEP_1)
	v_add_nc_u32_e32 v11, 0x680000, v11
; %bb.2959:                             ;   in Loop: Header=BB0_7 Depth=1
	s_or_b32 exec_lo, exec_lo, s86
.LBB0_2960:                             ;   in Loop: Header=BB0_7 Depth=1
	s_and_not1_saveexec_b32 s85, s85
; %bb.2961:                             ;   in Loop: Header=BB0_7 Depth=1
	s_delay_alu instid0(VALU_DEP_1)
	v_add_nc_u32_e32 v11, 0x6c0000, v11
; %bb.2962:                             ;   in Loop: Header=BB0_7 Depth=1
	s_or_b32 exec_lo, exec_lo, s85
.LBB0_2963:                             ;   in Loop: Header=BB0_7 Depth=1
	s_and_not1_saveexec_b32 s84, s84
; %bb.2964:                             ;   in Loop: Header=BB0_7 Depth=1
	s_delay_alu instid0(VALU_DEP_1)
	v_add_nc_u32_e32 v11, 0x700000, v11
; %bb.2965:                             ;   in Loop: Header=BB0_7 Depth=1
	s_or_b32 exec_lo, exec_lo, s84
.LBB0_2966:                             ;   in Loop: Header=BB0_7 Depth=1
	s_and_not1_saveexec_b32 s83, s83
; %bb.2967:                             ;   in Loop: Header=BB0_7 Depth=1
	s_delay_alu instid0(VALU_DEP_1)
	v_add_nc_u32_e32 v11, 0x740000, v11
; %bb.2968:                             ;   in Loop: Header=BB0_7 Depth=1
	s_or_b32 exec_lo, exec_lo, s83
.LBB0_2969:                             ;   in Loop: Header=BB0_7 Depth=1
	s_and_not1_saveexec_b32 s82, s82
; %bb.2970:                             ;   in Loop: Header=BB0_7 Depth=1
	s_delay_alu instid0(VALU_DEP_1)
	v_add_nc_u32_e32 v11, 0x780000, v11
; %bb.2971:                             ;   in Loop: Header=BB0_7 Depth=1
	s_or_b32 exec_lo, exec_lo, s82
.LBB0_2972:                             ;   in Loop: Header=BB0_7 Depth=1
	s_and_not1_saveexec_b32 s81, s81
; %bb.2973:                             ;   in Loop: Header=BB0_7 Depth=1
	s_delay_alu instid0(VALU_DEP_1)
	v_add_nc_u32_e32 v11, 0x7c0000, v11
; %bb.2974:                             ;   in Loop: Header=BB0_7 Depth=1
	s_or_b32 exec_lo, exec_lo, s81
.LBB0_2975:                             ;   in Loop: Header=BB0_7 Depth=1
	s_delay_alu instid0(SALU_CYCLE_1) | instskip(SKIP_1) | instid1(SALU_CYCLE_1)
	s_or_b32 exec_lo, exec_lo, s63
	s_or_b32 s63, s33, 27
	v_cmp_ge_u32_e32 vcc_lo, s63, v0
	s_and_saveexec_b32 s63, vcc_lo
	s_delay_alu instid0(SALU_CYCLE_1)
	s_xor_b32 s63, exec_lo, s63
; %bb.2976:                             ;   in Loop: Header=BB0_7 Depth=1
	v_add_nc_u32_e32 v11, 0x7c000000, v11
; %bb.2977:                             ;   in Loop: Header=BB0_7 Depth=1
	s_and_not1_saveexec_b32 s63, s63
	s_cbranch_execz .LBB0_3101
; %bb.2978:                             ;   in Loop: Header=BB0_7 Depth=1
	s_add_co_i32 s81, s62, 0
	s_delay_alu instid0(SALU_CYCLE_1)
	v_mov_b32_e32 v1, s81
	s_mov_b32 s81, exec_lo
	ds_load_2addr_b64 v[12:15], v1 offset0:81 offset1:82
	ds_load_b64 v[16:17], v1 offset:664
	s_wait_dscnt 0x1
	v_mul_f64_e32 v[8:9], v[4:5], v[14:15]
	s_delay_alu instid0(VALU_DEP_1) | instskip(SKIP_1) | instid1(VALU_DEP_1)
	v_fmac_f64_e32 v[8:9], v[2:3], v[12:13]
	s_wait_dscnt 0x0
	v_fmac_f64_e32 v[8:9], v[6:7], v[16:17]
	s_delay_alu instid0(VALU_DEP_1)
	v_cmpx_ngt_f64_e32 s[60:61], v[8:9]
	s_xor_b32 s81, exec_lo, s81
	s_cbranch_execz .LBB0_3098
; %bb.2979:                             ;   in Loop: Header=BB0_7 Depth=1
	s_mov_b32 s82, exec_lo
	v_cmpx_ngt_f64_e32 s[66:67], v[8:9]
	s_xor_b32 s82, exec_lo, s82
	s_cbranch_execz .LBB0_3095
; %bb.2980:                             ;   in Loop: Header=BB0_7 Depth=1
	s_mov_b32 s83, exec_lo
	;; [unrolled: 5-line block ×21, first 2 shown]
	v_cmpx_ngt_f64_e32 s[18:19], v[8:9]
	s_xor_b32 s104, exec_lo, s104
	s_cbranch_execz .LBB0_3035
; %bb.3000:                             ;   in Loop: Header=BB0_7 Depth=1
	s_mov_b32 vcc_hi, exec_lo
	v_cmpx_ngt_f64_e32 s[16:17], v[8:9]
	s_xor_b32 vcc_hi, exec_lo, vcc_hi
	s_delay_alu instid0(SALU_CYCLE_1)
	v_writelane_b32 v18, vcc_hi, 0
	s_cbranch_execz .LBB0_3032
; %bb.3001:                             ;   in Loop: Header=BB0_7 Depth=1
	s_mov_b32 vcc_hi, exec_lo
	v_cmpx_ngt_f64_e32 s[50:51], v[8:9]
	s_xor_b32 vcc_hi, exec_lo, vcc_hi
	s_delay_alu instid0(SALU_CYCLE_1)
	v_writelane_b32 v18, vcc_hi, 1
	s_cbranch_execz .LBB0_3029
; %bb.3002:                             ;   in Loop: Header=BB0_7 Depth=1
	s_mov_b32 vcc_hi, exec_lo
	v_cmpx_ngt_f64_e32 s[48:49], v[8:9]
	s_xor_b32 vcc_hi, exec_lo, vcc_hi
	s_delay_alu instid0(SALU_CYCLE_1)
	v_writelane_b32 v18, vcc_hi, 2
	s_cbranch_execz .LBB0_3026
; %bb.3003:                             ;   in Loop: Header=BB0_7 Depth=1
	s_mov_b32 vcc_hi, exec_lo
	v_cmpx_ngt_f64_e32 s[46:47], v[8:9]
	s_xor_b32 vcc_hi, exec_lo, vcc_hi
	s_delay_alu instid0(SALU_CYCLE_1)
	v_writelane_b32 v18, vcc_hi, 3
	s_cbranch_execz .LBB0_3023
; %bb.3004:                             ;   in Loop: Header=BB0_7 Depth=1
	s_mov_b32 vcc_hi, exec_lo
	v_cmpx_ngt_f64_e32 s[44:45], v[8:9]
	s_xor_b32 vcc_hi, exec_lo, vcc_hi
	s_delay_alu instid0(SALU_CYCLE_1)
	v_writelane_b32 v18, vcc_hi, 4
	s_cbranch_execz .LBB0_3020
; %bb.3005:                             ;   in Loop: Header=BB0_7 Depth=1
	s_mov_b32 vcc_hi, exec_lo
	v_cmpx_ngt_f64_e32 s[42:43], v[8:9]
	s_xor_b32 vcc_hi, exec_lo, vcc_hi
	s_delay_alu instid0(SALU_CYCLE_1)
	v_writelane_b32 v18, vcc_hi, 5
	s_cbranch_execz .LBB0_3017
; %bb.3006:                             ;   in Loop: Header=BB0_7 Depth=1
	s_mov_b32 vcc_hi, exec_lo
	v_cmpx_ngt_f64_e32 s[40:41], v[8:9]
	s_xor_b32 vcc_hi, exec_lo, vcc_hi
	s_delay_alu instid0(SALU_CYCLE_1)
	v_writelane_b32 v18, vcc_hi, 6
	s_cbranch_execz .LBB0_3014
; %bb.3007:                             ;   in Loop: Header=BB0_7 Depth=1
	s_mov_b32 vcc_hi, exec_lo
	v_cmpx_ngt_f64_e32 s[38:39], v[8:9]
	s_xor_b32 vcc_hi, exec_lo, vcc_hi
	s_delay_alu instid0(SALU_CYCLE_1)
	v_writelane_b32 v18, vcc_hi, 8
	s_cbranch_execz .LBB0_3011
; %bb.3008:                             ;   in Loop: Header=BB0_7 Depth=1
	s_mov_b32 vcc_lo, exec_lo
	v_cmpx_gt_f64_e32 s[36:37], v[8:9]
; %bb.3009:                             ;   in Loop: Header=BB0_7 Depth=1
	v_add_nc_u32_e32 v11, 0x4000000, v11
; %bb.3010:                             ;   in Loop: Header=BB0_7 Depth=1
	s_or_b32 exec_lo, exec_lo, vcc_lo
.LBB0_3011:                             ;   in Loop: Header=BB0_7 Depth=1
	s_delay_alu instid0(VALU_DEP_1)
	v_readlane_b32 vcc_lo, v18, 8
	s_and_not1_saveexec_b32 vcc_lo, vcc_lo
; %bb.3012:                             ;   in Loop: Header=BB0_7 Depth=1
	v_add_nc_u32_e32 v11, 0x8000000, v11
; %bb.3013:                             ;   in Loop: Header=BB0_7 Depth=1
	s_or_b32 exec_lo, exec_lo, vcc_lo
.LBB0_3014:                             ;   in Loop: Header=BB0_7 Depth=1
	s_delay_alu instid0(VALU_DEP_1)
	v_readlane_b32 vcc_lo, v18, 6
	s_and_not1_saveexec_b32 vcc_lo, vcc_lo
; %bb.3015:                             ;   in Loop: Header=BB0_7 Depth=1
	v_add_nc_u32_e32 v11, 0xc000000, v11
; %bb.3016:                             ;   in Loop: Header=BB0_7 Depth=1
	s_or_b32 exec_lo, exec_lo, vcc_lo
.LBB0_3017:                             ;   in Loop: Header=BB0_7 Depth=1
	s_delay_alu instid0(VALU_DEP_1)
	v_readlane_b32 vcc_lo, v18, 5
	s_and_not1_saveexec_b32 vcc_lo, vcc_lo
; %bb.3018:                             ;   in Loop: Header=BB0_7 Depth=1
	v_add_nc_u32_e32 v11, 0x10000000, v11
; %bb.3019:                             ;   in Loop: Header=BB0_7 Depth=1
	s_or_b32 exec_lo, exec_lo, vcc_lo
.LBB0_3020:                             ;   in Loop: Header=BB0_7 Depth=1
	s_delay_alu instid0(VALU_DEP_1)
	v_readlane_b32 vcc_lo, v18, 4
	s_and_not1_saveexec_b32 vcc_lo, vcc_lo
; %bb.3021:                             ;   in Loop: Header=BB0_7 Depth=1
	v_add_nc_u32_e32 v11, 0x14000000, v11
; %bb.3022:                             ;   in Loop: Header=BB0_7 Depth=1
	s_or_b32 exec_lo, exec_lo, vcc_lo
.LBB0_3023:                             ;   in Loop: Header=BB0_7 Depth=1
	s_delay_alu instid0(VALU_DEP_1)
	v_readlane_b32 vcc_lo, v18, 3
	s_and_not1_saveexec_b32 vcc_lo, vcc_lo
; %bb.3024:                             ;   in Loop: Header=BB0_7 Depth=1
	v_add_nc_u32_e32 v11, 0x18000000, v11
; %bb.3025:                             ;   in Loop: Header=BB0_7 Depth=1
	s_or_b32 exec_lo, exec_lo, vcc_lo
.LBB0_3026:                             ;   in Loop: Header=BB0_7 Depth=1
	s_delay_alu instid0(VALU_DEP_1)
	v_readlane_b32 vcc_lo, v18, 2
	s_and_not1_saveexec_b32 vcc_lo, vcc_lo
; %bb.3027:                             ;   in Loop: Header=BB0_7 Depth=1
	v_add_nc_u32_e32 v11, 0x1c000000, v11
; %bb.3028:                             ;   in Loop: Header=BB0_7 Depth=1
	s_or_b32 exec_lo, exec_lo, vcc_lo
.LBB0_3029:                             ;   in Loop: Header=BB0_7 Depth=1
	s_delay_alu instid0(VALU_DEP_1)
	v_readlane_b32 vcc_lo, v18, 1
	s_and_not1_saveexec_b32 vcc_lo, vcc_lo
; %bb.3030:                             ;   in Loop: Header=BB0_7 Depth=1
	v_add_nc_u32_e32 v11, 0x20000000, v11
; %bb.3031:                             ;   in Loop: Header=BB0_7 Depth=1
	s_or_b32 exec_lo, exec_lo, vcc_lo
.LBB0_3032:                             ;   in Loop: Header=BB0_7 Depth=1
	s_delay_alu instid0(VALU_DEP_1)
	v_readlane_b32 vcc_lo, v18, 0
	s_and_not1_saveexec_b32 vcc_lo, vcc_lo
; %bb.3033:                             ;   in Loop: Header=BB0_7 Depth=1
	v_add_nc_u32_e32 v11, 0x24000000, v11
; %bb.3034:                             ;   in Loop: Header=BB0_7 Depth=1
	s_or_b32 exec_lo, exec_lo, vcc_lo
.LBB0_3035:                             ;   in Loop: Header=BB0_7 Depth=1
	s_and_not1_saveexec_b32 s104, s104
; %bb.3036:                             ;   in Loop: Header=BB0_7 Depth=1
	s_delay_alu instid0(VALU_DEP_1)
	v_add_nc_u32_e32 v11, 0x28000000, v11
; %bb.3037:                             ;   in Loop: Header=BB0_7 Depth=1
	s_or_b32 exec_lo, exec_lo, s104
.LBB0_3038:                             ;   in Loop: Header=BB0_7 Depth=1
	s_and_not1_saveexec_b32 s101, s101
; %bb.3039:                             ;   in Loop: Header=BB0_7 Depth=1
	s_delay_alu instid0(VALU_DEP_1)
	v_add_nc_u32_e32 v11, 0x2c000000, v11
; %bb.3040:                             ;   in Loop: Header=BB0_7 Depth=1
	s_or_b32 exec_lo, exec_lo, s101
.LBB0_3041:                             ;   in Loop: Header=BB0_7 Depth=1
	s_and_not1_saveexec_b32 s100, s100
; %bb.3042:                             ;   in Loop: Header=BB0_7 Depth=1
	s_delay_alu instid0(VALU_DEP_1)
	v_add_nc_u32_e32 v11, 0x30000000, v11
; %bb.3043:                             ;   in Loop: Header=BB0_7 Depth=1
	s_or_b32 exec_lo, exec_lo, s100
.LBB0_3044:                             ;   in Loop: Header=BB0_7 Depth=1
	s_and_not1_saveexec_b32 s99, s99
; %bb.3045:                             ;   in Loop: Header=BB0_7 Depth=1
	s_delay_alu instid0(VALU_DEP_1)
	v_add_nc_u32_e32 v11, 0x34000000, v11
; %bb.3046:                             ;   in Loop: Header=BB0_7 Depth=1
	s_or_b32 exec_lo, exec_lo, s99
.LBB0_3047:                             ;   in Loop: Header=BB0_7 Depth=1
	s_and_not1_saveexec_b32 s98, s98
; %bb.3048:                             ;   in Loop: Header=BB0_7 Depth=1
	s_delay_alu instid0(VALU_DEP_1)
	v_add_nc_u32_e32 v11, 0x38000000, v11
; %bb.3049:                             ;   in Loop: Header=BB0_7 Depth=1
	s_or_b32 exec_lo, exec_lo, s98
.LBB0_3050:                             ;   in Loop: Header=BB0_7 Depth=1
	s_and_not1_saveexec_b32 s97, s97
; %bb.3051:                             ;   in Loop: Header=BB0_7 Depth=1
	s_delay_alu instid0(VALU_DEP_1)
	v_add_nc_u32_e32 v11, 0x3c000000, v11
; %bb.3052:                             ;   in Loop: Header=BB0_7 Depth=1
	s_or_b32 exec_lo, exec_lo, s97
.LBB0_3053:                             ;   in Loop: Header=BB0_7 Depth=1
	s_and_not1_saveexec_b32 s96, s96
; %bb.3054:                             ;   in Loop: Header=BB0_7 Depth=1
	s_delay_alu instid0(VALU_DEP_1)
	v_add_nc_u32_e32 v11, 2.0, v11
; %bb.3055:                             ;   in Loop: Header=BB0_7 Depth=1
	s_or_b32 exec_lo, exec_lo, s96
.LBB0_3056:                             ;   in Loop: Header=BB0_7 Depth=1
	s_and_not1_saveexec_b32 s95, s95
; %bb.3057:                             ;   in Loop: Header=BB0_7 Depth=1
	s_delay_alu instid0(VALU_DEP_1)
	v_add_nc_u32_e32 v11, 0x44000000, v11
; %bb.3058:                             ;   in Loop: Header=BB0_7 Depth=1
	s_or_b32 exec_lo, exec_lo, s95
.LBB0_3059:                             ;   in Loop: Header=BB0_7 Depth=1
	s_and_not1_saveexec_b32 s94, s94
; %bb.3060:                             ;   in Loop: Header=BB0_7 Depth=1
	s_delay_alu instid0(VALU_DEP_1)
	v_add_nc_u32_e32 v11, 0x48000000, v11
; %bb.3061:                             ;   in Loop: Header=BB0_7 Depth=1
	s_or_b32 exec_lo, exec_lo, s94
.LBB0_3062:                             ;   in Loop: Header=BB0_7 Depth=1
	s_and_not1_saveexec_b32 s93, s93
; %bb.3063:                             ;   in Loop: Header=BB0_7 Depth=1
	s_delay_alu instid0(VALU_DEP_1)
	v_add_nc_u32_e32 v11, 0x4c000000, v11
; %bb.3064:                             ;   in Loop: Header=BB0_7 Depth=1
	s_or_b32 exec_lo, exec_lo, s93
.LBB0_3065:                             ;   in Loop: Header=BB0_7 Depth=1
	s_and_not1_saveexec_b32 s92, s92
; %bb.3066:                             ;   in Loop: Header=BB0_7 Depth=1
	s_delay_alu instid0(VALU_DEP_1)
	v_add_nc_u32_e32 v11, 0x50000000, v11
; %bb.3067:                             ;   in Loop: Header=BB0_7 Depth=1
	s_or_b32 exec_lo, exec_lo, s92
.LBB0_3068:                             ;   in Loop: Header=BB0_7 Depth=1
	s_and_not1_saveexec_b32 s91, s91
; %bb.3069:                             ;   in Loop: Header=BB0_7 Depth=1
	s_delay_alu instid0(VALU_DEP_1)
	v_add_nc_u32_e32 v11, 0x54000000, v11
; %bb.3070:                             ;   in Loop: Header=BB0_7 Depth=1
	s_or_b32 exec_lo, exec_lo, s91
.LBB0_3071:                             ;   in Loop: Header=BB0_7 Depth=1
	s_and_not1_saveexec_b32 s90, s90
; %bb.3072:                             ;   in Loop: Header=BB0_7 Depth=1
	s_delay_alu instid0(VALU_DEP_1)
	v_add_nc_u32_e32 v11, 0x58000000, v11
; %bb.3073:                             ;   in Loop: Header=BB0_7 Depth=1
	s_or_b32 exec_lo, exec_lo, s90
.LBB0_3074:                             ;   in Loop: Header=BB0_7 Depth=1
	s_and_not1_saveexec_b32 s89, s89
; %bb.3075:                             ;   in Loop: Header=BB0_7 Depth=1
	s_delay_alu instid0(VALU_DEP_1)
	v_add_nc_u32_e32 v11, 0x5c000000, v11
; %bb.3076:                             ;   in Loop: Header=BB0_7 Depth=1
	s_or_b32 exec_lo, exec_lo, s89
.LBB0_3077:                             ;   in Loop: Header=BB0_7 Depth=1
	s_and_not1_saveexec_b32 s88, s88
; %bb.3078:                             ;   in Loop: Header=BB0_7 Depth=1
	s_delay_alu instid0(VALU_DEP_1)
	v_add_nc_u32_e32 v11, 0x60000000, v11
; %bb.3079:                             ;   in Loop: Header=BB0_7 Depth=1
	s_or_b32 exec_lo, exec_lo, s88
.LBB0_3080:                             ;   in Loop: Header=BB0_7 Depth=1
	s_and_not1_saveexec_b32 s87, s87
; %bb.3081:                             ;   in Loop: Header=BB0_7 Depth=1
	s_delay_alu instid0(VALU_DEP_1)
	v_add_nc_u32_e32 v11, 0x64000000, v11
; %bb.3082:                             ;   in Loop: Header=BB0_7 Depth=1
	s_or_b32 exec_lo, exec_lo, s87
.LBB0_3083:                             ;   in Loop: Header=BB0_7 Depth=1
	s_and_not1_saveexec_b32 s86, s86
; %bb.3084:                             ;   in Loop: Header=BB0_7 Depth=1
	s_delay_alu instid0(VALU_DEP_1)
	v_add_nc_u32_e32 v11, 0x68000000, v11
; %bb.3085:                             ;   in Loop: Header=BB0_7 Depth=1
	s_or_b32 exec_lo, exec_lo, s86
.LBB0_3086:                             ;   in Loop: Header=BB0_7 Depth=1
	s_and_not1_saveexec_b32 s85, s85
; %bb.3087:                             ;   in Loop: Header=BB0_7 Depth=1
	s_delay_alu instid0(VALU_DEP_1)
	v_add_nc_u32_e32 v11, 0x6c000000, v11
; %bb.3088:                             ;   in Loop: Header=BB0_7 Depth=1
	s_or_b32 exec_lo, exec_lo, s85
.LBB0_3089:                             ;   in Loop: Header=BB0_7 Depth=1
	s_and_not1_saveexec_b32 s84, s84
; %bb.3090:                             ;   in Loop: Header=BB0_7 Depth=1
	s_delay_alu instid0(VALU_DEP_1)
	v_add_nc_u32_e32 v11, 0x70000000, v11
; %bb.3091:                             ;   in Loop: Header=BB0_7 Depth=1
	s_or_b32 exec_lo, exec_lo, s84
.LBB0_3092:                             ;   in Loop: Header=BB0_7 Depth=1
	s_and_not1_saveexec_b32 s83, s83
; %bb.3093:                             ;   in Loop: Header=BB0_7 Depth=1
	s_delay_alu instid0(VALU_DEP_1)
	v_add_nc_u32_e32 v11, 0x74000000, v11
; %bb.3094:                             ;   in Loop: Header=BB0_7 Depth=1
	s_or_b32 exec_lo, exec_lo, s83
.LBB0_3095:                             ;   in Loop: Header=BB0_7 Depth=1
	s_and_not1_saveexec_b32 s82, s82
; %bb.3096:                             ;   in Loop: Header=BB0_7 Depth=1
	s_delay_alu instid0(VALU_DEP_1)
	v_add_nc_u32_e32 v11, 0x78000000, v11
; %bb.3097:                             ;   in Loop: Header=BB0_7 Depth=1
	s_or_b32 exec_lo, exec_lo, s82
.LBB0_3098:                             ;   in Loop: Header=BB0_7 Depth=1
	s_and_not1_saveexec_b32 s81, s81
; %bb.3099:                             ;   in Loop: Header=BB0_7 Depth=1
	s_delay_alu instid0(VALU_DEP_1)
	v_add_nc_u32_e32 v11, 0x7c000000, v11
; %bb.3100:                             ;   in Loop: Header=BB0_7 Depth=1
	s_or_b32 exec_lo, exec_lo, s81
.LBB0_3101:                             ;   in Loop: Header=BB0_7 Depth=1
	s_delay_alu instid0(SALU_CYCLE_1)
	s_or_b32 exec_lo, exec_lo, s63
	v_lshl_add_u32 v8, s80, 12, v10
	v_mov_b32_e32 v1, 0x7c
	s_or_b32 s63, s33, 28
	s_mov_b32 s80, exec_lo
	global_store_b32 v8, v11, s[34:35] scale_offset
	s_wait_xcnt 0x0
	v_cmpx_lt_u32_e64 s63, v0
	s_cbranch_execz .LBB0_3165
; %bb.3102:                             ;   in Loop: Header=BB0_7 Depth=1
	s_add_co_i32 s81, s62, 0
	s_delay_alu instid0(SALU_CYCLE_1)
	v_mov_b32_e32 v1, s81
	s_mov_b32 s81, exec_lo
	ds_load_2addr_b64 v[12:15], v1 offset0:84 offset1:85
	ds_load_b64 v[16:17], v1 offset:688
	v_mov_b32_e32 v1, 0x7c
	s_wait_dscnt 0x1
	v_mul_f64_e32 v[8:9], v[4:5], v[14:15]
	s_delay_alu instid0(VALU_DEP_1) | instskip(SKIP_1) | instid1(VALU_DEP_1)
	v_fmac_f64_e32 v[8:9], v[2:3], v[12:13]
	s_wait_dscnt 0x0
	v_fmac_f64_e32 v[8:9], v[6:7], v[16:17]
	s_delay_alu instid0(VALU_DEP_1)
	v_cmpx_ngt_f64_e32 s[60:61], v[8:9]
	s_cbranch_execz .LBB0_3164
; %bb.3103:                             ;   in Loop: Header=BB0_7 Depth=1
	v_mov_b32_e32 v1, 0x78
	s_mov_b32 s82, exec_lo
	v_cmpx_ngt_f64_e32 s[66:67], v[8:9]
	s_cbranch_execz .LBB0_3163
; %bb.3104:                             ;   in Loop: Header=BB0_7 Depth=1
	v_mov_b32_e32 v1, 0x74
	s_mov_b32 s83, exec_lo
	;; [unrolled: 5-line block ×21, first 2 shown]
	v_cmpx_ngt_f64_e32 s[18:19], v[8:9]
	s_cbranch_execz .LBB0_3143
; %bb.3124:                             ;   in Loop: Header=BB0_7 Depth=1
	v_mov_b32_e32 v1, 36
	v_cmp_ngt_f64_e32 vcc_lo, s[16:17], v[8:9]
	s_mov_b32 vcc_hi, exec_lo
	s_delay_alu instid0(SALU_CYCLE_1)
	s_and_b32 vcc_lo, vcc_hi, vcc_lo
	v_writelane_b32 v18, vcc_hi, 0
	s_mov_b32 exec_lo, vcc_lo
	s_cbranch_execz .LBB0_3142
; %bb.3125:                             ;   in Loop: Header=BB0_7 Depth=1
	v_mov_b32_e32 v1, 32
	v_cmp_ngt_f64_e32 vcc_lo, s[50:51], v[8:9]
	s_mov_b32 vcc_hi, exec_lo
	s_delay_alu instid0(SALU_CYCLE_1)
	s_and_b32 vcc_lo, vcc_hi, vcc_lo
	v_writelane_b32 v18, vcc_hi, 1
	s_mov_b32 exec_lo, vcc_lo
	;; [unrolled: 9-line block ×8, first 2 shown]
	s_cbranch_execz .LBB0_3135
; %bb.3132:                             ;   in Loop: Header=BB0_7 Depth=1
	v_mov_b32_e32 v1, 0
	s_mov_b32 vcc_hi, exec_lo
	v_cmpx_gt_f64_e32 s[36:37], v[8:9]
; %bb.3133:                             ;   in Loop: Header=BB0_7 Depth=1
	v_mov_b32_e32 v1, 4
; %bb.3134:                             ;   in Loop: Header=BB0_7 Depth=1
	s_or_b32 exec_lo, exec_lo, vcc_hi
.LBB0_3135:                             ;   in Loop: Header=BB0_7 Depth=1
	s_delay_alu instid0(VALU_DEP_1)
	v_readlane_b32 vcc_lo, v18, 8
	s_or_b32 exec_lo, exec_lo, vcc_lo
.LBB0_3136:                             ;   in Loop: Header=BB0_7 Depth=1
	s_delay_alu instid0(VALU_DEP_1)
	v_readlane_b32 vcc_lo, v18, 6
	s_or_b32 exec_lo, exec_lo, vcc_lo
.LBB0_3137:                             ;   in Loop: Header=BB0_7 Depth=1
	s_delay_alu instid0(VALU_DEP_1)
	v_readlane_b32 vcc_lo, v18, 5
	s_or_b32 exec_lo, exec_lo, vcc_lo
.LBB0_3138:                             ;   in Loop: Header=BB0_7 Depth=1
	s_delay_alu instid0(VALU_DEP_1)
	v_readlane_b32 vcc_lo, v18, 4
	s_or_b32 exec_lo, exec_lo, vcc_lo
.LBB0_3139:                             ;   in Loop: Header=BB0_7 Depth=1
	s_delay_alu instid0(VALU_DEP_1)
	v_readlane_b32 vcc_lo, v18, 3
	s_or_b32 exec_lo, exec_lo, vcc_lo
.LBB0_3140:                             ;   in Loop: Header=BB0_7 Depth=1
	s_delay_alu instid0(VALU_DEP_1)
	v_readlane_b32 vcc_lo, v18, 2
	s_or_b32 exec_lo, exec_lo, vcc_lo
.LBB0_3141:                             ;   in Loop: Header=BB0_7 Depth=1
	s_delay_alu instid0(VALU_DEP_1)
	v_readlane_b32 vcc_lo, v18, 1
	s_or_b32 exec_lo, exec_lo, vcc_lo
.LBB0_3142:                             ;   in Loop: Header=BB0_7 Depth=1
	s_delay_alu instid0(VALU_DEP_1)
	v_readlane_b32 vcc_lo, v18, 0
	s_or_b32 exec_lo, exec_lo, vcc_lo
.LBB0_3143:                             ;   in Loop: Header=BB0_7 Depth=1
	s_delay_alu instid0(SALU_CYCLE_1)
	s_or_b32 exec_lo, exec_lo, s104
.LBB0_3144:                             ;   in Loop: Header=BB0_7 Depth=1
	s_delay_alu instid0(SALU_CYCLE_1)
	s_or_b32 exec_lo, exec_lo, s101
.LBB0_3145:                             ;   in Loop: Header=BB0_7 Depth=1
	s_delay_alu instid0(SALU_CYCLE_1)
	s_or_b32 exec_lo, exec_lo, s100
.LBB0_3146:                             ;   in Loop: Header=BB0_7 Depth=1
	s_delay_alu instid0(SALU_CYCLE_1)
	s_or_b32 exec_lo, exec_lo, s99
.LBB0_3147:                             ;   in Loop: Header=BB0_7 Depth=1
	s_delay_alu instid0(SALU_CYCLE_1)
	s_or_b32 exec_lo, exec_lo, s98
.LBB0_3148:                             ;   in Loop: Header=BB0_7 Depth=1
	s_delay_alu instid0(SALU_CYCLE_1)
	s_or_b32 exec_lo, exec_lo, s97
.LBB0_3149:                             ;   in Loop: Header=BB0_7 Depth=1
	s_delay_alu instid0(SALU_CYCLE_1)
	s_or_b32 exec_lo, exec_lo, s96
.LBB0_3150:                             ;   in Loop: Header=BB0_7 Depth=1
	s_delay_alu instid0(SALU_CYCLE_1)
	s_or_b32 exec_lo, exec_lo, s95
.LBB0_3151:                             ;   in Loop: Header=BB0_7 Depth=1
	s_delay_alu instid0(SALU_CYCLE_1)
	s_or_b32 exec_lo, exec_lo, s94
.LBB0_3152:                             ;   in Loop: Header=BB0_7 Depth=1
	s_delay_alu instid0(SALU_CYCLE_1)
	s_or_b32 exec_lo, exec_lo, s93
.LBB0_3153:                             ;   in Loop: Header=BB0_7 Depth=1
	s_delay_alu instid0(SALU_CYCLE_1)
	s_or_b32 exec_lo, exec_lo, s92
.LBB0_3154:                             ;   in Loop: Header=BB0_7 Depth=1
	s_delay_alu instid0(SALU_CYCLE_1)
	s_or_b32 exec_lo, exec_lo, s91
.LBB0_3155:                             ;   in Loop: Header=BB0_7 Depth=1
	s_delay_alu instid0(SALU_CYCLE_1)
	s_or_b32 exec_lo, exec_lo, s90
.LBB0_3156:                             ;   in Loop: Header=BB0_7 Depth=1
	s_delay_alu instid0(SALU_CYCLE_1)
	s_or_b32 exec_lo, exec_lo, s89
.LBB0_3157:                             ;   in Loop: Header=BB0_7 Depth=1
	s_delay_alu instid0(SALU_CYCLE_1)
	s_or_b32 exec_lo, exec_lo, s88
.LBB0_3158:                             ;   in Loop: Header=BB0_7 Depth=1
	s_delay_alu instid0(SALU_CYCLE_1)
	s_or_b32 exec_lo, exec_lo, s87
.LBB0_3159:                             ;   in Loop: Header=BB0_7 Depth=1
	s_delay_alu instid0(SALU_CYCLE_1)
	s_or_b32 exec_lo, exec_lo, s86
.LBB0_3160:                             ;   in Loop: Header=BB0_7 Depth=1
	s_delay_alu instid0(SALU_CYCLE_1)
	s_or_b32 exec_lo, exec_lo, s85
.LBB0_3161:                             ;   in Loop: Header=BB0_7 Depth=1
	s_delay_alu instid0(SALU_CYCLE_1)
	s_or_b32 exec_lo, exec_lo, s84
.LBB0_3162:                             ;   in Loop: Header=BB0_7 Depth=1
	s_delay_alu instid0(SALU_CYCLE_1)
	s_or_b32 exec_lo, exec_lo, s83
.LBB0_3163:                             ;   in Loop: Header=BB0_7 Depth=1
	s_delay_alu instid0(SALU_CYCLE_1)
	s_or_b32 exec_lo, exec_lo, s82
.LBB0_3164:                             ;   in Loop: Header=BB0_7 Depth=1
	s_delay_alu instid0(SALU_CYCLE_1)
	s_or_b32 exec_lo, exec_lo, s81
.LBB0_3165:                             ;   in Loop: Header=BB0_7 Depth=1
	s_delay_alu instid0(SALU_CYCLE_1) | instskip(SKIP_1) | instid1(SALU_CYCLE_1)
	s_or_b32 exec_lo, exec_lo, s80
	s_or_b32 s80, s33, 29
	v_cmp_ge_u32_e32 vcc_lo, s80, v0
	s_and_saveexec_b32 s80, vcc_lo
	s_delay_alu instid0(SALU_CYCLE_1)
	s_xor_b32 s80, exec_lo, s80
; %bb.3166:                             ;   in Loop: Header=BB0_7 Depth=1
	v_or_b32_e32 v1, 0x7c00, v1
; %bb.3167:                             ;   in Loop: Header=BB0_7 Depth=1
	s_and_not1_saveexec_b32 s80, s80
	s_cbranch_execz .LBB0_3291
; %bb.3168:                             ;   in Loop: Header=BB0_7 Depth=1
	s_add_co_i32 s81, s62, 0
	s_delay_alu instid0(SALU_CYCLE_1)
	v_mov_b32_e32 v8, s81
	s_mov_b32 s81, exec_lo
	ds_load_2addr_b64 v[12:15], v8 offset0:87 offset1:88
	ds_load_b64 v[16:17], v8 offset:712
	s_wait_dscnt 0x1
	v_mul_f64_e32 v[8:9], v[4:5], v[14:15]
	s_delay_alu instid0(VALU_DEP_1) | instskip(SKIP_1) | instid1(VALU_DEP_1)
	v_fmac_f64_e32 v[8:9], v[2:3], v[12:13]
	s_wait_dscnt 0x0
	v_fmac_f64_e32 v[8:9], v[6:7], v[16:17]
	s_delay_alu instid0(VALU_DEP_1)
	v_cmpx_ngt_f64_e32 s[60:61], v[8:9]
	s_xor_b32 s81, exec_lo, s81
	s_cbranch_execz .LBB0_3288
; %bb.3169:                             ;   in Loop: Header=BB0_7 Depth=1
	s_mov_b32 s82, exec_lo
	v_cmpx_ngt_f64_e32 s[66:67], v[8:9]
	s_xor_b32 s82, exec_lo, s82
	s_cbranch_execz .LBB0_3285
; %bb.3170:                             ;   in Loop: Header=BB0_7 Depth=1
	s_mov_b32 s83, exec_lo
	;; [unrolled: 5-line block ×21, first 2 shown]
	v_cmpx_ngt_f64_e32 s[18:19], v[8:9]
	s_xor_b32 s104, exec_lo, s104
	s_cbranch_execz .LBB0_3225
; %bb.3190:                             ;   in Loop: Header=BB0_7 Depth=1
	s_mov_b32 vcc_hi, exec_lo
	v_cmpx_ngt_f64_e32 s[16:17], v[8:9]
	s_xor_b32 vcc_hi, exec_lo, vcc_hi
	s_delay_alu instid0(SALU_CYCLE_1)
	v_writelane_b32 v18, vcc_hi, 0
	s_cbranch_execz .LBB0_3222
; %bb.3191:                             ;   in Loop: Header=BB0_7 Depth=1
	s_mov_b32 vcc_hi, exec_lo
	v_cmpx_ngt_f64_e32 s[50:51], v[8:9]
	s_xor_b32 vcc_hi, exec_lo, vcc_hi
	s_delay_alu instid0(SALU_CYCLE_1)
	v_writelane_b32 v18, vcc_hi, 1
	;; [unrolled: 7-line block ×8, first 2 shown]
	s_cbranch_execz .LBB0_3201
; %bb.3198:                             ;   in Loop: Header=BB0_7 Depth=1
	s_mov_b32 vcc_lo, exec_lo
	v_cmpx_gt_f64_e32 s[36:37], v[8:9]
; %bb.3199:                             ;   in Loop: Header=BB0_7 Depth=1
	v_or_b32_e32 v1, 0x400, v1
; %bb.3200:                             ;   in Loop: Header=BB0_7 Depth=1
	s_or_b32 exec_lo, exec_lo, vcc_lo
.LBB0_3201:                             ;   in Loop: Header=BB0_7 Depth=1
	s_delay_alu instid0(VALU_DEP_1)
	v_readlane_b32 vcc_lo, v18, 8
	s_and_not1_saveexec_b32 vcc_lo, vcc_lo
; %bb.3202:                             ;   in Loop: Header=BB0_7 Depth=1
	v_or_b32_e32 v1, 0x800, v1
; %bb.3203:                             ;   in Loop: Header=BB0_7 Depth=1
	s_or_b32 exec_lo, exec_lo, vcc_lo
.LBB0_3204:                             ;   in Loop: Header=BB0_7 Depth=1
	s_delay_alu instid0(VALU_DEP_1)
	v_readlane_b32 vcc_lo, v18, 6
	s_and_not1_saveexec_b32 vcc_lo, vcc_lo
; %bb.3205:                             ;   in Loop: Header=BB0_7 Depth=1
	v_or_b32_e32 v1, 0xc00, v1
; %bb.3206:                             ;   in Loop: Header=BB0_7 Depth=1
	s_or_b32 exec_lo, exec_lo, vcc_lo
.LBB0_3207:                             ;   in Loop: Header=BB0_7 Depth=1
	s_delay_alu instid0(VALU_DEP_1)
	v_readlane_b32 vcc_lo, v18, 5
	s_and_not1_saveexec_b32 vcc_lo, vcc_lo
; %bb.3208:                             ;   in Loop: Header=BB0_7 Depth=1
	v_or_b32_e32 v1, 0x1000, v1
; %bb.3209:                             ;   in Loop: Header=BB0_7 Depth=1
	s_or_b32 exec_lo, exec_lo, vcc_lo
.LBB0_3210:                             ;   in Loop: Header=BB0_7 Depth=1
	s_delay_alu instid0(VALU_DEP_1)
	v_readlane_b32 vcc_lo, v18, 4
	s_and_not1_saveexec_b32 vcc_lo, vcc_lo
; %bb.3211:                             ;   in Loop: Header=BB0_7 Depth=1
	v_or_b32_e32 v1, 0x1400, v1
; %bb.3212:                             ;   in Loop: Header=BB0_7 Depth=1
	s_or_b32 exec_lo, exec_lo, vcc_lo
.LBB0_3213:                             ;   in Loop: Header=BB0_7 Depth=1
	s_delay_alu instid0(VALU_DEP_1)
	v_readlane_b32 vcc_lo, v18, 3
	s_and_not1_saveexec_b32 vcc_lo, vcc_lo
; %bb.3214:                             ;   in Loop: Header=BB0_7 Depth=1
	v_or_b32_e32 v1, 0x1800, v1
; %bb.3215:                             ;   in Loop: Header=BB0_7 Depth=1
	s_or_b32 exec_lo, exec_lo, vcc_lo
.LBB0_3216:                             ;   in Loop: Header=BB0_7 Depth=1
	s_delay_alu instid0(VALU_DEP_1)
	v_readlane_b32 vcc_lo, v18, 2
	s_and_not1_saveexec_b32 vcc_lo, vcc_lo
; %bb.3217:                             ;   in Loop: Header=BB0_7 Depth=1
	v_or_b32_e32 v1, 0x1c00, v1
; %bb.3218:                             ;   in Loop: Header=BB0_7 Depth=1
	s_or_b32 exec_lo, exec_lo, vcc_lo
.LBB0_3219:                             ;   in Loop: Header=BB0_7 Depth=1
	s_delay_alu instid0(VALU_DEP_1)
	v_readlane_b32 vcc_lo, v18, 1
	s_and_not1_saveexec_b32 vcc_lo, vcc_lo
; %bb.3220:                             ;   in Loop: Header=BB0_7 Depth=1
	v_or_b32_e32 v1, 0x2000, v1
; %bb.3221:                             ;   in Loop: Header=BB0_7 Depth=1
	s_or_b32 exec_lo, exec_lo, vcc_lo
.LBB0_3222:                             ;   in Loop: Header=BB0_7 Depth=1
	s_delay_alu instid0(VALU_DEP_1)
	v_readlane_b32 vcc_lo, v18, 0
	s_and_not1_saveexec_b32 vcc_lo, vcc_lo
; %bb.3223:                             ;   in Loop: Header=BB0_7 Depth=1
	v_or_b32_e32 v1, 0x2400, v1
; %bb.3224:                             ;   in Loop: Header=BB0_7 Depth=1
	s_or_b32 exec_lo, exec_lo, vcc_lo
.LBB0_3225:                             ;   in Loop: Header=BB0_7 Depth=1
	s_and_not1_saveexec_b32 s104, s104
; %bb.3226:                             ;   in Loop: Header=BB0_7 Depth=1
	s_delay_alu instid0(VALU_DEP_1)
	v_or_b32_e32 v1, 0x2800, v1
; %bb.3227:                             ;   in Loop: Header=BB0_7 Depth=1
	s_or_b32 exec_lo, exec_lo, s104
.LBB0_3228:                             ;   in Loop: Header=BB0_7 Depth=1
	s_and_not1_saveexec_b32 s101, s101
; %bb.3229:                             ;   in Loop: Header=BB0_7 Depth=1
	s_delay_alu instid0(VALU_DEP_1)
	v_or_b32_e32 v1, 0x2c00, v1
; %bb.3230:                             ;   in Loop: Header=BB0_7 Depth=1
	s_or_b32 exec_lo, exec_lo, s101
.LBB0_3231:                             ;   in Loop: Header=BB0_7 Depth=1
	s_and_not1_saveexec_b32 s100, s100
; %bb.3232:                             ;   in Loop: Header=BB0_7 Depth=1
	s_delay_alu instid0(VALU_DEP_1)
	v_or_b32_e32 v1, 0x3000, v1
; %bb.3233:                             ;   in Loop: Header=BB0_7 Depth=1
	s_or_b32 exec_lo, exec_lo, s100
.LBB0_3234:                             ;   in Loop: Header=BB0_7 Depth=1
	s_and_not1_saveexec_b32 s99, s99
; %bb.3235:                             ;   in Loop: Header=BB0_7 Depth=1
	s_delay_alu instid0(VALU_DEP_1)
	v_or_b32_e32 v1, 0x3400, v1
; %bb.3236:                             ;   in Loop: Header=BB0_7 Depth=1
	s_or_b32 exec_lo, exec_lo, s99
.LBB0_3237:                             ;   in Loop: Header=BB0_7 Depth=1
	s_and_not1_saveexec_b32 s98, s98
; %bb.3238:                             ;   in Loop: Header=BB0_7 Depth=1
	s_delay_alu instid0(VALU_DEP_1)
	v_or_b32_e32 v1, 0x3800, v1
; %bb.3239:                             ;   in Loop: Header=BB0_7 Depth=1
	s_or_b32 exec_lo, exec_lo, s98
.LBB0_3240:                             ;   in Loop: Header=BB0_7 Depth=1
	s_and_not1_saveexec_b32 s97, s97
; %bb.3241:                             ;   in Loop: Header=BB0_7 Depth=1
	s_delay_alu instid0(VALU_DEP_1)
	v_or_b32_e32 v1, 0x3c00, v1
; %bb.3242:                             ;   in Loop: Header=BB0_7 Depth=1
	s_or_b32 exec_lo, exec_lo, s97
.LBB0_3243:                             ;   in Loop: Header=BB0_7 Depth=1
	s_and_not1_saveexec_b32 s96, s96
; %bb.3244:                             ;   in Loop: Header=BB0_7 Depth=1
	s_delay_alu instid0(VALU_DEP_1)
	v_or_b32_e32 v1, 0x4000, v1
; %bb.3245:                             ;   in Loop: Header=BB0_7 Depth=1
	s_or_b32 exec_lo, exec_lo, s96
.LBB0_3246:                             ;   in Loop: Header=BB0_7 Depth=1
	s_and_not1_saveexec_b32 s95, s95
; %bb.3247:                             ;   in Loop: Header=BB0_7 Depth=1
	s_delay_alu instid0(VALU_DEP_1)
	v_or_b32_e32 v1, 0x4400, v1
; %bb.3248:                             ;   in Loop: Header=BB0_7 Depth=1
	s_or_b32 exec_lo, exec_lo, s95
.LBB0_3249:                             ;   in Loop: Header=BB0_7 Depth=1
	s_and_not1_saveexec_b32 s94, s94
; %bb.3250:                             ;   in Loop: Header=BB0_7 Depth=1
	s_delay_alu instid0(VALU_DEP_1)
	v_or_b32_e32 v1, 0x4800, v1
; %bb.3251:                             ;   in Loop: Header=BB0_7 Depth=1
	s_or_b32 exec_lo, exec_lo, s94
.LBB0_3252:                             ;   in Loop: Header=BB0_7 Depth=1
	s_and_not1_saveexec_b32 s93, s93
; %bb.3253:                             ;   in Loop: Header=BB0_7 Depth=1
	s_delay_alu instid0(VALU_DEP_1)
	v_or_b32_e32 v1, 0x4c00, v1
; %bb.3254:                             ;   in Loop: Header=BB0_7 Depth=1
	s_or_b32 exec_lo, exec_lo, s93
.LBB0_3255:                             ;   in Loop: Header=BB0_7 Depth=1
	s_and_not1_saveexec_b32 s92, s92
; %bb.3256:                             ;   in Loop: Header=BB0_7 Depth=1
	s_delay_alu instid0(VALU_DEP_1)
	v_or_b32_e32 v1, 0x5000, v1
; %bb.3257:                             ;   in Loop: Header=BB0_7 Depth=1
	s_or_b32 exec_lo, exec_lo, s92
.LBB0_3258:                             ;   in Loop: Header=BB0_7 Depth=1
	s_and_not1_saveexec_b32 s91, s91
; %bb.3259:                             ;   in Loop: Header=BB0_7 Depth=1
	s_delay_alu instid0(VALU_DEP_1)
	v_or_b32_e32 v1, 0x5400, v1
; %bb.3260:                             ;   in Loop: Header=BB0_7 Depth=1
	s_or_b32 exec_lo, exec_lo, s91
.LBB0_3261:                             ;   in Loop: Header=BB0_7 Depth=1
	s_and_not1_saveexec_b32 s90, s90
; %bb.3262:                             ;   in Loop: Header=BB0_7 Depth=1
	s_delay_alu instid0(VALU_DEP_1)
	v_or_b32_e32 v1, 0x5800, v1
; %bb.3263:                             ;   in Loop: Header=BB0_7 Depth=1
	s_or_b32 exec_lo, exec_lo, s90
.LBB0_3264:                             ;   in Loop: Header=BB0_7 Depth=1
	s_and_not1_saveexec_b32 s89, s89
; %bb.3265:                             ;   in Loop: Header=BB0_7 Depth=1
	s_delay_alu instid0(VALU_DEP_1)
	v_or_b32_e32 v1, 0x5c00, v1
; %bb.3266:                             ;   in Loop: Header=BB0_7 Depth=1
	s_or_b32 exec_lo, exec_lo, s89
.LBB0_3267:                             ;   in Loop: Header=BB0_7 Depth=1
	s_and_not1_saveexec_b32 s88, s88
; %bb.3268:                             ;   in Loop: Header=BB0_7 Depth=1
	s_delay_alu instid0(VALU_DEP_1)
	v_or_b32_e32 v1, 0x6000, v1
; %bb.3269:                             ;   in Loop: Header=BB0_7 Depth=1
	s_or_b32 exec_lo, exec_lo, s88
.LBB0_3270:                             ;   in Loop: Header=BB0_7 Depth=1
	s_and_not1_saveexec_b32 s87, s87
; %bb.3271:                             ;   in Loop: Header=BB0_7 Depth=1
	s_delay_alu instid0(VALU_DEP_1)
	v_or_b32_e32 v1, 0x6400, v1
; %bb.3272:                             ;   in Loop: Header=BB0_7 Depth=1
	s_or_b32 exec_lo, exec_lo, s87
.LBB0_3273:                             ;   in Loop: Header=BB0_7 Depth=1
	s_and_not1_saveexec_b32 s86, s86
; %bb.3274:                             ;   in Loop: Header=BB0_7 Depth=1
	s_delay_alu instid0(VALU_DEP_1)
	v_or_b32_e32 v1, 0x6800, v1
; %bb.3275:                             ;   in Loop: Header=BB0_7 Depth=1
	s_or_b32 exec_lo, exec_lo, s86
.LBB0_3276:                             ;   in Loop: Header=BB0_7 Depth=1
	s_and_not1_saveexec_b32 s85, s85
; %bb.3277:                             ;   in Loop: Header=BB0_7 Depth=1
	s_delay_alu instid0(VALU_DEP_1)
	v_or_b32_e32 v1, 0x6c00, v1
; %bb.3278:                             ;   in Loop: Header=BB0_7 Depth=1
	s_or_b32 exec_lo, exec_lo, s85
.LBB0_3279:                             ;   in Loop: Header=BB0_7 Depth=1
	s_and_not1_saveexec_b32 s84, s84
; %bb.3280:                             ;   in Loop: Header=BB0_7 Depth=1
	s_delay_alu instid0(VALU_DEP_1)
	v_or_b32_e32 v1, 0x7000, v1
; %bb.3281:                             ;   in Loop: Header=BB0_7 Depth=1
	s_or_b32 exec_lo, exec_lo, s84
.LBB0_3282:                             ;   in Loop: Header=BB0_7 Depth=1
	s_and_not1_saveexec_b32 s83, s83
; %bb.3283:                             ;   in Loop: Header=BB0_7 Depth=1
	s_delay_alu instid0(VALU_DEP_1)
	v_or_b32_e32 v1, 0x7400, v1
; %bb.3284:                             ;   in Loop: Header=BB0_7 Depth=1
	s_or_b32 exec_lo, exec_lo, s83
.LBB0_3285:                             ;   in Loop: Header=BB0_7 Depth=1
	s_and_not1_saveexec_b32 s82, s82
; %bb.3286:                             ;   in Loop: Header=BB0_7 Depth=1
	s_delay_alu instid0(VALU_DEP_1)
	v_or_b32_e32 v1, 0x7800, v1
; %bb.3287:                             ;   in Loop: Header=BB0_7 Depth=1
	s_or_b32 exec_lo, exec_lo, s82
.LBB0_3288:                             ;   in Loop: Header=BB0_7 Depth=1
	s_and_not1_saveexec_b32 s81, s81
; %bb.3289:                             ;   in Loop: Header=BB0_7 Depth=1
	s_delay_alu instid0(VALU_DEP_1)
	v_or_b32_e32 v1, 0x7c00, v1
; %bb.3290:                             ;   in Loop: Header=BB0_7 Depth=1
	s_or_b32 exec_lo, exec_lo, s81
.LBB0_3291:                             ;   in Loop: Header=BB0_7 Depth=1
	s_delay_alu instid0(SALU_CYCLE_1) | instskip(SKIP_1) | instid1(SALU_CYCLE_1)
	s_or_b32 exec_lo, exec_lo, s80
	s_or_b32 s80, s33, 30
	v_cmp_ge_u32_e32 vcc_lo, s80, v0
	s_and_saveexec_b32 s80, vcc_lo
	s_delay_alu instid0(SALU_CYCLE_1)
	s_xor_b32 s80, exec_lo, s80
; %bb.3292:                             ;   in Loop: Header=BB0_7 Depth=1
	v_add_nc_u32_e32 v1, 0x7c0000, v1
; %bb.3293:                             ;   in Loop: Header=BB0_7 Depth=1
	s_and_not1_saveexec_b32 s80, s80
	s_cbranch_execz .LBB0_3417
; %bb.3294:                             ;   in Loop: Header=BB0_7 Depth=1
	s_add_co_i32 s81, s62, 0
	s_delay_alu instid0(SALU_CYCLE_1)
	v_mov_b32_e32 v8, s81
	s_mov_b32 s81, exec_lo
	ds_load_2addr_b64 v[12:15], v8 offset0:90 offset1:91
	ds_load_b64 v[16:17], v8 offset:736
	s_wait_dscnt 0x1
	v_mul_f64_e32 v[8:9], v[4:5], v[14:15]
	s_delay_alu instid0(VALU_DEP_1) | instskip(SKIP_1) | instid1(VALU_DEP_1)
	v_fmac_f64_e32 v[8:9], v[2:3], v[12:13]
	s_wait_dscnt 0x0
	v_fmac_f64_e32 v[8:9], v[6:7], v[16:17]
	s_delay_alu instid0(VALU_DEP_1)
	v_cmpx_ngt_f64_e32 s[60:61], v[8:9]
	s_xor_b32 s81, exec_lo, s81
	s_cbranch_execz .LBB0_3414
; %bb.3295:                             ;   in Loop: Header=BB0_7 Depth=1
	s_mov_b32 s82, exec_lo
	v_cmpx_ngt_f64_e32 s[66:67], v[8:9]
	s_xor_b32 s82, exec_lo, s82
	s_cbranch_execz .LBB0_3411
; %bb.3296:                             ;   in Loop: Header=BB0_7 Depth=1
	s_mov_b32 s83, exec_lo
	;; [unrolled: 5-line block ×21, first 2 shown]
	v_cmpx_ngt_f64_e32 s[18:19], v[8:9]
	s_xor_b32 s104, exec_lo, s104
	s_cbranch_execz .LBB0_3351
; %bb.3316:                             ;   in Loop: Header=BB0_7 Depth=1
	s_mov_b32 vcc_hi, exec_lo
	v_cmpx_ngt_f64_e32 s[16:17], v[8:9]
	s_xor_b32 vcc_hi, exec_lo, vcc_hi
	s_delay_alu instid0(SALU_CYCLE_1)
	v_writelane_b32 v18, vcc_hi, 0
	s_cbranch_execz .LBB0_3348
; %bb.3317:                             ;   in Loop: Header=BB0_7 Depth=1
	s_mov_b32 vcc_hi, exec_lo
	v_cmpx_ngt_f64_e32 s[50:51], v[8:9]
	s_xor_b32 vcc_hi, exec_lo, vcc_hi
	s_delay_alu instid0(SALU_CYCLE_1)
	v_writelane_b32 v18, vcc_hi, 1
	;; [unrolled: 7-line block ×8, first 2 shown]
	s_cbranch_execz .LBB0_3327
; %bb.3324:                             ;   in Loop: Header=BB0_7 Depth=1
	s_mov_b32 vcc_lo, exec_lo
	v_cmpx_gt_f64_e32 s[36:37], v[8:9]
; %bb.3325:                             ;   in Loop: Header=BB0_7 Depth=1
	v_add_nc_u32_e32 v1, 0x40000, v1
; %bb.3326:                             ;   in Loop: Header=BB0_7 Depth=1
	s_or_b32 exec_lo, exec_lo, vcc_lo
.LBB0_3327:                             ;   in Loop: Header=BB0_7 Depth=1
	s_delay_alu instid0(VALU_DEP_1)
	v_readlane_b32 vcc_lo, v18, 8
	s_and_not1_saveexec_b32 vcc_lo, vcc_lo
; %bb.3328:                             ;   in Loop: Header=BB0_7 Depth=1
	v_add_nc_u32_e32 v1, 0x80000, v1
; %bb.3329:                             ;   in Loop: Header=BB0_7 Depth=1
	s_or_b32 exec_lo, exec_lo, vcc_lo
.LBB0_3330:                             ;   in Loop: Header=BB0_7 Depth=1
	s_delay_alu instid0(VALU_DEP_1)
	v_readlane_b32 vcc_lo, v18, 6
	s_and_not1_saveexec_b32 vcc_lo, vcc_lo
; %bb.3331:                             ;   in Loop: Header=BB0_7 Depth=1
	v_add_nc_u32_e32 v1, 0xc0000, v1
; %bb.3332:                             ;   in Loop: Header=BB0_7 Depth=1
	s_or_b32 exec_lo, exec_lo, vcc_lo
.LBB0_3333:                             ;   in Loop: Header=BB0_7 Depth=1
	s_delay_alu instid0(VALU_DEP_1)
	v_readlane_b32 vcc_lo, v18, 5
	s_and_not1_saveexec_b32 vcc_lo, vcc_lo
; %bb.3334:                             ;   in Loop: Header=BB0_7 Depth=1
	v_add_nc_u32_e32 v1, 0x100000, v1
; %bb.3335:                             ;   in Loop: Header=BB0_7 Depth=1
	s_or_b32 exec_lo, exec_lo, vcc_lo
.LBB0_3336:                             ;   in Loop: Header=BB0_7 Depth=1
	s_delay_alu instid0(VALU_DEP_1)
	v_readlane_b32 vcc_lo, v18, 4
	s_and_not1_saveexec_b32 vcc_lo, vcc_lo
; %bb.3337:                             ;   in Loop: Header=BB0_7 Depth=1
	v_add_nc_u32_e32 v1, 0x140000, v1
; %bb.3338:                             ;   in Loop: Header=BB0_7 Depth=1
	s_or_b32 exec_lo, exec_lo, vcc_lo
.LBB0_3339:                             ;   in Loop: Header=BB0_7 Depth=1
	s_delay_alu instid0(VALU_DEP_1)
	v_readlane_b32 vcc_lo, v18, 3
	s_and_not1_saveexec_b32 vcc_lo, vcc_lo
; %bb.3340:                             ;   in Loop: Header=BB0_7 Depth=1
	v_add_nc_u32_e32 v1, 0x180000, v1
; %bb.3341:                             ;   in Loop: Header=BB0_7 Depth=1
	s_or_b32 exec_lo, exec_lo, vcc_lo
.LBB0_3342:                             ;   in Loop: Header=BB0_7 Depth=1
	s_delay_alu instid0(VALU_DEP_1)
	v_readlane_b32 vcc_lo, v18, 2
	s_and_not1_saveexec_b32 vcc_lo, vcc_lo
; %bb.3343:                             ;   in Loop: Header=BB0_7 Depth=1
	v_add_nc_u32_e32 v1, 0x1c0000, v1
; %bb.3344:                             ;   in Loop: Header=BB0_7 Depth=1
	s_or_b32 exec_lo, exec_lo, vcc_lo
.LBB0_3345:                             ;   in Loop: Header=BB0_7 Depth=1
	s_delay_alu instid0(VALU_DEP_1)
	v_readlane_b32 vcc_lo, v18, 1
	s_and_not1_saveexec_b32 vcc_lo, vcc_lo
; %bb.3346:                             ;   in Loop: Header=BB0_7 Depth=1
	v_add_nc_u32_e32 v1, 0x200000, v1
; %bb.3347:                             ;   in Loop: Header=BB0_7 Depth=1
	s_or_b32 exec_lo, exec_lo, vcc_lo
.LBB0_3348:                             ;   in Loop: Header=BB0_7 Depth=1
	s_delay_alu instid0(VALU_DEP_1)
	v_readlane_b32 vcc_lo, v18, 0
	s_and_not1_saveexec_b32 vcc_lo, vcc_lo
; %bb.3349:                             ;   in Loop: Header=BB0_7 Depth=1
	v_add_nc_u32_e32 v1, 0x240000, v1
; %bb.3350:                             ;   in Loop: Header=BB0_7 Depth=1
	s_or_b32 exec_lo, exec_lo, vcc_lo
.LBB0_3351:                             ;   in Loop: Header=BB0_7 Depth=1
	s_and_not1_saveexec_b32 s104, s104
; %bb.3352:                             ;   in Loop: Header=BB0_7 Depth=1
	s_delay_alu instid0(VALU_DEP_1)
	v_add_nc_u32_e32 v1, 0x280000, v1
; %bb.3353:                             ;   in Loop: Header=BB0_7 Depth=1
	s_or_b32 exec_lo, exec_lo, s104
.LBB0_3354:                             ;   in Loop: Header=BB0_7 Depth=1
	s_and_not1_saveexec_b32 s101, s101
; %bb.3355:                             ;   in Loop: Header=BB0_7 Depth=1
	s_delay_alu instid0(VALU_DEP_1)
	v_add_nc_u32_e32 v1, 0x2c0000, v1
; %bb.3356:                             ;   in Loop: Header=BB0_7 Depth=1
	s_or_b32 exec_lo, exec_lo, s101
.LBB0_3357:                             ;   in Loop: Header=BB0_7 Depth=1
	s_and_not1_saveexec_b32 s100, s100
; %bb.3358:                             ;   in Loop: Header=BB0_7 Depth=1
	s_delay_alu instid0(VALU_DEP_1)
	v_add_nc_u32_e32 v1, 0x300000, v1
; %bb.3359:                             ;   in Loop: Header=BB0_7 Depth=1
	s_or_b32 exec_lo, exec_lo, s100
.LBB0_3360:                             ;   in Loop: Header=BB0_7 Depth=1
	s_and_not1_saveexec_b32 s99, s99
; %bb.3361:                             ;   in Loop: Header=BB0_7 Depth=1
	s_delay_alu instid0(VALU_DEP_1)
	v_add_nc_u32_e32 v1, 0x340000, v1
; %bb.3362:                             ;   in Loop: Header=BB0_7 Depth=1
	s_or_b32 exec_lo, exec_lo, s99
.LBB0_3363:                             ;   in Loop: Header=BB0_7 Depth=1
	s_and_not1_saveexec_b32 s98, s98
; %bb.3364:                             ;   in Loop: Header=BB0_7 Depth=1
	s_delay_alu instid0(VALU_DEP_1)
	v_add_nc_u32_e32 v1, 0x380000, v1
; %bb.3365:                             ;   in Loop: Header=BB0_7 Depth=1
	s_or_b32 exec_lo, exec_lo, s98
.LBB0_3366:                             ;   in Loop: Header=BB0_7 Depth=1
	s_and_not1_saveexec_b32 s97, s97
; %bb.3367:                             ;   in Loop: Header=BB0_7 Depth=1
	s_delay_alu instid0(VALU_DEP_1)
	v_add_nc_u32_e32 v1, 0x3c0000, v1
; %bb.3368:                             ;   in Loop: Header=BB0_7 Depth=1
	s_or_b32 exec_lo, exec_lo, s97
.LBB0_3369:                             ;   in Loop: Header=BB0_7 Depth=1
	s_and_not1_saveexec_b32 s96, s96
; %bb.3370:                             ;   in Loop: Header=BB0_7 Depth=1
	s_delay_alu instid0(VALU_DEP_1)
	v_add_nc_u32_e32 v1, 0x400000, v1
; %bb.3371:                             ;   in Loop: Header=BB0_7 Depth=1
	s_or_b32 exec_lo, exec_lo, s96
.LBB0_3372:                             ;   in Loop: Header=BB0_7 Depth=1
	s_and_not1_saveexec_b32 s95, s95
; %bb.3373:                             ;   in Loop: Header=BB0_7 Depth=1
	s_delay_alu instid0(VALU_DEP_1)
	v_add_nc_u32_e32 v1, 0x440000, v1
; %bb.3374:                             ;   in Loop: Header=BB0_7 Depth=1
	s_or_b32 exec_lo, exec_lo, s95
.LBB0_3375:                             ;   in Loop: Header=BB0_7 Depth=1
	s_and_not1_saveexec_b32 s94, s94
; %bb.3376:                             ;   in Loop: Header=BB0_7 Depth=1
	s_delay_alu instid0(VALU_DEP_1)
	v_add_nc_u32_e32 v1, 0x480000, v1
; %bb.3377:                             ;   in Loop: Header=BB0_7 Depth=1
	s_or_b32 exec_lo, exec_lo, s94
.LBB0_3378:                             ;   in Loop: Header=BB0_7 Depth=1
	s_and_not1_saveexec_b32 s93, s93
; %bb.3379:                             ;   in Loop: Header=BB0_7 Depth=1
	s_delay_alu instid0(VALU_DEP_1)
	v_add_nc_u32_e32 v1, 0x4c0000, v1
; %bb.3380:                             ;   in Loop: Header=BB0_7 Depth=1
	s_or_b32 exec_lo, exec_lo, s93
.LBB0_3381:                             ;   in Loop: Header=BB0_7 Depth=1
	s_and_not1_saveexec_b32 s92, s92
; %bb.3382:                             ;   in Loop: Header=BB0_7 Depth=1
	s_delay_alu instid0(VALU_DEP_1)
	v_add_nc_u32_e32 v1, 0x500000, v1
; %bb.3383:                             ;   in Loop: Header=BB0_7 Depth=1
	s_or_b32 exec_lo, exec_lo, s92
.LBB0_3384:                             ;   in Loop: Header=BB0_7 Depth=1
	s_and_not1_saveexec_b32 s91, s91
; %bb.3385:                             ;   in Loop: Header=BB0_7 Depth=1
	s_delay_alu instid0(VALU_DEP_1)
	v_add_nc_u32_e32 v1, 0x540000, v1
; %bb.3386:                             ;   in Loop: Header=BB0_7 Depth=1
	s_or_b32 exec_lo, exec_lo, s91
.LBB0_3387:                             ;   in Loop: Header=BB0_7 Depth=1
	s_and_not1_saveexec_b32 s90, s90
; %bb.3388:                             ;   in Loop: Header=BB0_7 Depth=1
	s_delay_alu instid0(VALU_DEP_1)
	v_add_nc_u32_e32 v1, 0x580000, v1
; %bb.3389:                             ;   in Loop: Header=BB0_7 Depth=1
	s_or_b32 exec_lo, exec_lo, s90
.LBB0_3390:                             ;   in Loop: Header=BB0_7 Depth=1
	s_and_not1_saveexec_b32 s89, s89
; %bb.3391:                             ;   in Loop: Header=BB0_7 Depth=1
	s_delay_alu instid0(VALU_DEP_1)
	v_add_nc_u32_e32 v1, 0x5c0000, v1
; %bb.3392:                             ;   in Loop: Header=BB0_7 Depth=1
	s_or_b32 exec_lo, exec_lo, s89
.LBB0_3393:                             ;   in Loop: Header=BB0_7 Depth=1
	s_and_not1_saveexec_b32 s88, s88
; %bb.3394:                             ;   in Loop: Header=BB0_7 Depth=1
	s_delay_alu instid0(VALU_DEP_1)
	v_add_nc_u32_e32 v1, 0x600000, v1
; %bb.3395:                             ;   in Loop: Header=BB0_7 Depth=1
	s_or_b32 exec_lo, exec_lo, s88
.LBB0_3396:                             ;   in Loop: Header=BB0_7 Depth=1
	s_and_not1_saveexec_b32 s87, s87
; %bb.3397:                             ;   in Loop: Header=BB0_7 Depth=1
	s_delay_alu instid0(VALU_DEP_1)
	v_add_nc_u32_e32 v1, 0x640000, v1
; %bb.3398:                             ;   in Loop: Header=BB0_7 Depth=1
	s_or_b32 exec_lo, exec_lo, s87
.LBB0_3399:                             ;   in Loop: Header=BB0_7 Depth=1
	s_and_not1_saveexec_b32 s86, s86
; %bb.3400:                             ;   in Loop: Header=BB0_7 Depth=1
	s_delay_alu instid0(VALU_DEP_1)
	v_add_nc_u32_e32 v1, 0x680000, v1
; %bb.3401:                             ;   in Loop: Header=BB0_7 Depth=1
	s_or_b32 exec_lo, exec_lo, s86
.LBB0_3402:                             ;   in Loop: Header=BB0_7 Depth=1
	s_and_not1_saveexec_b32 s85, s85
; %bb.3403:                             ;   in Loop: Header=BB0_7 Depth=1
	s_delay_alu instid0(VALU_DEP_1)
	v_add_nc_u32_e32 v1, 0x6c0000, v1
; %bb.3404:                             ;   in Loop: Header=BB0_7 Depth=1
	s_or_b32 exec_lo, exec_lo, s85
.LBB0_3405:                             ;   in Loop: Header=BB0_7 Depth=1
	s_and_not1_saveexec_b32 s84, s84
; %bb.3406:                             ;   in Loop: Header=BB0_7 Depth=1
	s_delay_alu instid0(VALU_DEP_1)
	v_add_nc_u32_e32 v1, 0x700000, v1
; %bb.3407:                             ;   in Loop: Header=BB0_7 Depth=1
	s_or_b32 exec_lo, exec_lo, s84
.LBB0_3408:                             ;   in Loop: Header=BB0_7 Depth=1
	s_and_not1_saveexec_b32 s83, s83
; %bb.3409:                             ;   in Loop: Header=BB0_7 Depth=1
	s_delay_alu instid0(VALU_DEP_1)
	v_add_nc_u32_e32 v1, 0x740000, v1
; %bb.3410:                             ;   in Loop: Header=BB0_7 Depth=1
	s_or_b32 exec_lo, exec_lo, s83
.LBB0_3411:                             ;   in Loop: Header=BB0_7 Depth=1
	s_and_not1_saveexec_b32 s82, s82
; %bb.3412:                             ;   in Loop: Header=BB0_7 Depth=1
	s_delay_alu instid0(VALU_DEP_1)
	v_add_nc_u32_e32 v1, 0x780000, v1
; %bb.3413:                             ;   in Loop: Header=BB0_7 Depth=1
	s_or_b32 exec_lo, exec_lo, s82
.LBB0_3414:                             ;   in Loop: Header=BB0_7 Depth=1
	s_and_not1_saveexec_b32 s81, s81
; %bb.3415:                             ;   in Loop: Header=BB0_7 Depth=1
	s_delay_alu instid0(VALU_DEP_1)
	v_add_nc_u32_e32 v1, 0x7c0000, v1
; %bb.3416:                             ;   in Loop: Header=BB0_7 Depth=1
	s_or_b32 exec_lo, exec_lo, s81
.LBB0_3417:                             ;   in Loop: Header=BB0_7 Depth=1
	s_delay_alu instid0(SALU_CYCLE_1) | instskip(SKIP_1) | instid1(SALU_CYCLE_1)
	s_or_b32 exec_lo, exec_lo, s80
	s_or_b32 s80, s33, 31
	v_cmp_ge_u32_e32 vcc_lo, s80, v0
	s_and_saveexec_b32 s80, vcc_lo
	s_delay_alu instid0(SALU_CYCLE_1)
	s_xor_b32 s80, exec_lo, s80
; %bb.3418:                             ;   in Loop: Header=BB0_7 Depth=1
	v_add_nc_u32_e32 v1, 0x7c000000, v1
; %bb.3419:                             ;   in Loop: Header=BB0_7 Depth=1
	s_and_not1_saveexec_b32 s80, s80
	s_cbranch_execz .LBB0_3543
; %bb.3420:                             ;   in Loop: Header=BB0_7 Depth=1
	s_add_co_i32 s81, s62, 0
	s_delay_alu instid0(SALU_CYCLE_1)
	v_mov_b32_e32 v8, s81
	s_mov_b32 s81, exec_lo
	ds_load_2addr_b64 v[12:15], v8 offset0:93 offset1:94
	ds_load_b64 v[16:17], v8 offset:760
	s_wait_dscnt 0x1
	v_mul_f64_e32 v[8:9], v[4:5], v[14:15]
	s_delay_alu instid0(VALU_DEP_1) | instskip(SKIP_1) | instid1(VALU_DEP_1)
	v_fmac_f64_e32 v[8:9], v[2:3], v[12:13]
	s_wait_dscnt 0x0
	v_fmac_f64_e32 v[8:9], v[6:7], v[16:17]
	s_delay_alu instid0(VALU_DEP_1)
	v_cmpx_ngt_f64_e32 s[60:61], v[8:9]
	s_xor_b32 s81, exec_lo, s81
	s_cbranch_execz .LBB0_3540
; %bb.3421:                             ;   in Loop: Header=BB0_7 Depth=1
	s_mov_b32 s82, exec_lo
	v_cmpx_ngt_f64_e32 s[66:67], v[8:9]
	s_xor_b32 s82, exec_lo, s82
	s_cbranch_execz .LBB0_3537
; %bb.3422:                             ;   in Loop: Header=BB0_7 Depth=1
	s_mov_b32 s83, exec_lo
	;; [unrolled: 5-line block ×21, first 2 shown]
	v_cmpx_ngt_f64_e32 s[18:19], v[8:9]
	s_xor_b32 s104, exec_lo, s104
	s_cbranch_execz .LBB0_3477
; %bb.3442:                             ;   in Loop: Header=BB0_7 Depth=1
	s_mov_b32 vcc_hi, exec_lo
	v_cmpx_ngt_f64_e32 s[16:17], v[8:9]
	s_xor_b32 vcc_hi, exec_lo, vcc_hi
	s_delay_alu instid0(SALU_CYCLE_1)
	v_writelane_b32 v18, vcc_hi, 0
	s_cbranch_execz .LBB0_3474
; %bb.3443:                             ;   in Loop: Header=BB0_7 Depth=1
	s_mov_b32 vcc_hi, exec_lo
	v_cmpx_ngt_f64_e32 s[50:51], v[8:9]
	s_xor_b32 vcc_hi, exec_lo, vcc_hi
	s_delay_alu instid0(SALU_CYCLE_1)
	v_writelane_b32 v18, vcc_hi, 1
	;; [unrolled: 7-line block ×8, first 2 shown]
	s_cbranch_execz .LBB0_3453
; %bb.3450:                             ;   in Loop: Header=BB0_7 Depth=1
	s_mov_b32 vcc_lo, exec_lo
	v_cmpx_gt_f64_e32 s[36:37], v[8:9]
; %bb.3451:                             ;   in Loop: Header=BB0_7 Depth=1
	v_add_nc_u32_e32 v1, 0x4000000, v1
; %bb.3452:                             ;   in Loop: Header=BB0_7 Depth=1
	s_or_b32 exec_lo, exec_lo, vcc_lo
.LBB0_3453:                             ;   in Loop: Header=BB0_7 Depth=1
	s_delay_alu instid0(VALU_DEP_1)
	v_readlane_b32 vcc_lo, v18, 8
	s_and_not1_saveexec_b32 vcc_lo, vcc_lo
; %bb.3454:                             ;   in Loop: Header=BB0_7 Depth=1
	v_add_nc_u32_e32 v1, 0x8000000, v1
; %bb.3455:                             ;   in Loop: Header=BB0_7 Depth=1
	s_or_b32 exec_lo, exec_lo, vcc_lo
.LBB0_3456:                             ;   in Loop: Header=BB0_7 Depth=1
	s_delay_alu instid0(VALU_DEP_1)
	v_readlane_b32 vcc_lo, v18, 6
	s_and_not1_saveexec_b32 vcc_lo, vcc_lo
; %bb.3457:                             ;   in Loop: Header=BB0_7 Depth=1
	v_add_nc_u32_e32 v1, 0xc000000, v1
; %bb.3458:                             ;   in Loop: Header=BB0_7 Depth=1
	s_or_b32 exec_lo, exec_lo, vcc_lo
.LBB0_3459:                             ;   in Loop: Header=BB0_7 Depth=1
	s_delay_alu instid0(VALU_DEP_1)
	v_readlane_b32 vcc_lo, v18, 5
	s_and_not1_saveexec_b32 vcc_lo, vcc_lo
; %bb.3460:                             ;   in Loop: Header=BB0_7 Depth=1
	v_add_nc_u32_e32 v1, 0x10000000, v1
; %bb.3461:                             ;   in Loop: Header=BB0_7 Depth=1
	s_or_b32 exec_lo, exec_lo, vcc_lo
.LBB0_3462:                             ;   in Loop: Header=BB0_7 Depth=1
	s_delay_alu instid0(VALU_DEP_1)
	v_readlane_b32 vcc_lo, v18, 4
	s_and_not1_saveexec_b32 vcc_lo, vcc_lo
; %bb.3463:                             ;   in Loop: Header=BB0_7 Depth=1
	v_add_nc_u32_e32 v1, 0x14000000, v1
; %bb.3464:                             ;   in Loop: Header=BB0_7 Depth=1
	s_or_b32 exec_lo, exec_lo, vcc_lo
.LBB0_3465:                             ;   in Loop: Header=BB0_7 Depth=1
	s_delay_alu instid0(VALU_DEP_1)
	v_readlane_b32 vcc_lo, v18, 3
	s_and_not1_saveexec_b32 vcc_lo, vcc_lo
; %bb.3466:                             ;   in Loop: Header=BB0_7 Depth=1
	v_add_nc_u32_e32 v1, 0x18000000, v1
; %bb.3467:                             ;   in Loop: Header=BB0_7 Depth=1
	s_or_b32 exec_lo, exec_lo, vcc_lo
.LBB0_3468:                             ;   in Loop: Header=BB0_7 Depth=1
	s_delay_alu instid0(VALU_DEP_1)
	v_readlane_b32 vcc_lo, v18, 2
	s_and_not1_saveexec_b32 vcc_lo, vcc_lo
; %bb.3469:                             ;   in Loop: Header=BB0_7 Depth=1
	v_add_nc_u32_e32 v1, 0x1c000000, v1
; %bb.3470:                             ;   in Loop: Header=BB0_7 Depth=1
	s_or_b32 exec_lo, exec_lo, vcc_lo
.LBB0_3471:                             ;   in Loop: Header=BB0_7 Depth=1
	s_delay_alu instid0(VALU_DEP_1)
	v_readlane_b32 vcc_lo, v18, 1
	s_and_not1_saveexec_b32 vcc_lo, vcc_lo
; %bb.3472:                             ;   in Loop: Header=BB0_7 Depth=1
	v_add_nc_u32_e32 v1, 0x20000000, v1
; %bb.3473:                             ;   in Loop: Header=BB0_7 Depth=1
	s_or_b32 exec_lo, exec_lo, vcc_lo
.LBB0_3474:                             ;   in Loop: Header=BB0_7 Depth=1
	s_delay_alu instid0(VALU_DEP_1)
	v_readlane_b32 vcc_lo, v18, 0
	s_and_not1_saveexec_b32 vcc_lo, vcc_lo
; %bb.3475:                             ;   in Loop: Header=BB0_7 Depth=1
	v_add_nc_u32_e32 v1, 0x24000000, v1
; %bb.3476:                             ;   in Loop: Header=BB0_7 Depth=1
	s_or_b32 exec_lo, exec_lo, vcc_lo
.LBB0_3477:                             ;   in Loop: Header=BB0_7 Depth=1
	s_and_not1_saveexec_b32 s104, s104
; %bb.3478:                             ;   in Loop: Header=BB0_7 Depth=1
	s_delay_alu instid0(VALU_DEP_1)
	v_add_nc_u32_e32 v1, 0x28000000, v1
; %bb.3479:                             ;   in Loop: Header=BB0_7 Depth=1
	s_or_b32 exec_lo, exec_lo, s104
.LBB0_3480:                             ;   in Loop: Header=BB0_7 Depth=1
	s_and_not1_saveexec_b32 s101, s101
; %bb.3481:                             ;   in Loop: Header=BB0_7 Depth=1
	s_delay_alu instid0(VALU_DEP_1)
	v_add_nc_u32_e32 v1, 0x2c000000, v1
; %bb.3482:                             ;   in Loop: Header=BB0_7 Depth=1
	s_or_b32 exec_lo, exec_lo, s101
.LBB0_3483:                             ;   in Loop: Header=BB0_7 Depth=1
	s_and_not1_saveexec_b32 s100, s100
; %bb.3484:                             ;   in Loop: Header=BB0_7 Depth=1
	s_delay_alu instid0(VALU_DEP_1)
	v_add_nc_u32_e32 v1, 0x30000000, v1
; %bb.3485:                             ;   in Loop: Header=BB0_7 Depth=1
	s_or_b32 exec_lo, exec_lo, s100
.LBB0_3486:                             ;   in Loop: Header=BB0_7 Depth=1
	s_and_not1_saveexec_b32 s99, s99
; %bb.3487:                             ;   in Loop: Header=BB0_7 Depth=1
	s_delay_alu instid0(VALU_DEP_1)
	v_add_nc_u32_e32 v1, 0x34000000, v1
; %bb.3488:                             ;   in Loop: Header=BB0_7 Depth=1
	s_or_b32 exec_lo, exec_lo, s99
.LBB0_3489:                             ;   in Loop: Header=BB0_7 Depth=1
	s_and_not1_saveexec_b32 s98, s98
; %bb.3490:                             ;   in Loop: Header=BB0_7 Depth=1
	s_delay_alu instid0(VALU_DEP_1)
	v_add_nc_u32_e32 v1, 0x38000000, v1
; %bb.3491:                             ;   in Loop: Header=BB0_7 Depth=1
	s_or_b32 exec_lo, exec_lo, s98
.LBB0_3492:                             ;   in Loop: Header=BB0_7 Depth=1
	s_and_not1_saveexec_b32 s97, s97
; %bb.3493:                             ;   in Loop: Header=BB0_7 Depth=1
	s_delay_alu instid0(VALU_DEP_1)
	v_add_nc_u32_e32 v1, 0x3c000000, v1
; %bb.3494:                             ;   in Loop: Header=BB0_7 Depth=1
	s_or_b32 exec_lo, exec_lo, s97
.LBB0_3495:                             ;   in Loop: Header=BB0_7 Depth=1
	s_and_not1_saveexec_b32 s96, s96
; %bb.3496:                             ;   in Loop: Header=BB0_7 Depth=1
	s_delay_alu instid0(VALU_DEP_1)
	v_add_nc_u32_e32 v1, 2.0, v1
; %bb.3497:                             ;   in Loop: Header=BB0_7 Depth=1
	s_or_b32 exec_lo, exec_lo, s96
.LBB0_3498:                             ;   in Loop: Header=BB0_7 Depth=1
	s_and_not1_saveexec_b32 s95, s95
; %bb.3499:                             ;   in Loop: Header=BB0_7 Depth=1
	s_delay_alu instid0(VALU_DEP_1)
	v_add_nc_u32_e32 v1, 0x44000000, v1
; %bb.3500:                             ;   in Loop: Header=BB0_7 Depth=1
	s_or_b32 exec_lo, exec_lo, s95
.LBB0_3501:                             ;   in Loop: Header=BB0_7 Depth=1
	s_and_not1_saveexec_b32 s94, s94
; %bb.3502:                             ;   in Loop: Header=BB0_7 Depth=1
	s_delay_alu instid0(VALU_DEP_1)
	v_add_nc_u32_e32 v1, 0x48000000, v1
; %bb.3503:                             ;   in Loop: Header=BB0_7 Depth=1
	s_or_b32 exec_lo, exec_lo, s94
.LBB0_3504:                             ;   in Loop: Header=BB0_7 Depth=1
	s_and_not1_saveexec_b32 s93, s93
; %bb.3505:                             ;   in Loop: Header=BB0_7 Depth=1
	s_delay_alu instid0(VALU_DEP_1)
	v_add_nc_u32_e32 v1, 0x4c000000, v1
; %bb.3506:                             ;   in Loop: Header=BB0_7 Depth=1
	s_or_b32 exec_lo, exec_lo, s93
.LBB0_3507:                             ;   in Loop: Header=BB0_7 Depth=1
	s_and_not1_saveexec_b32 s92, s92
; %bb.3508:                             ;   in Loop: Header=BB0_7 Depth=1
	s_delay_alu instid0(VALU_DEP_1)
	v_add_nc_u32_e32 v1, 0x50000000, v1
; %bb.3509:                             ;   in Loop: Header=BB0_7 Depth=1
	s_or_b32 exec_lo, exec_lo, s92
.LBB0_3510:                             ;   in Loop: Header=BB0_7 Depth=1
	s_and_not1_saveexec_b32 s91, s91
; %bb.3511:                             ;   in Loop: Header=BB0_7 Depth=1
	s_delay_alu instid0(VALU_DEP_1)
	v_add_nc_u32_e32 v1, 0x54000000, v1
; %bb.3512:                             ;   in Loop: Header=BB0_7 Depth=1
	s_or_b32 exec_lo, exec_lo, s91
.LBB0_3513:                             ;   in Loop: Header=BB0_7 Depth=1
	s_and_not1_saveexec_b32 s90, s90
; %bb.3514:                             ;   in Loop: Header=BB0_7 Depth=1
	s_delay_alu instid0(VALU_DEP_1)
	v_add_nc_u32_e32 v1, 0x58000000, v1
; %bb.3515:                             ;   in Loop: Header=BB0_7 Depth=1
	s_or_b32 exec_lo, exec_lo, s90
.LBB0_3516:                             ;   in Loop: Header=BB0_7 Depth=1
	s_and_not1_saveexec_b32 s89, s89
; %bb.3517:                             ;   in Loop: Header=BB0_7 Depth=1
	s_delay_alu instid0(VALU_DEP_1)
	v_add_nc_u32_e32 v1, 0x5c000000, v1
; %bb.3518:                             ;   in Loop: Header=BB0_7 Depth=1
	s_or_b32 exec_lo, exec_lo, s89
.LBB0_3519:                             ;   in Loop: Header=BB0_7 Depth=1
	s_and_not1_saveexec_b32 s88, s88
; %bb.3520:                             ;   in Loop: Header=BB0_7 Depth=1
	s_delay_alu instid0(VALU_DEP_1)
	v_add_nc_u32_e32 v1, 0x60000000, v1
; %bb.3521:                             ;   in Loop: Header=BB0_7 Depth=1
	s_or_b32 exec_lo, exec_lo, s88
.LBB0_3522:                             ;   in Loop: Header=BB0_7 Depth=1
	s_and_not1_saveexec_b32 s87, s87
; %bb.3523:                             ;   in Loop: Header=BB0_7 Depth=1
	s_delay_alu instid0(VALU_DEP_1)
	v_add_nc_u32_e32 v1, 0x64000000, v1
; %bb.3524:                             ;   in Loop: Header=BB0_7 Depth=1
	s_or_b32 exec_lo, exec_lo, s87
.LBB0_3525:                             ;   in Loop: Header=BB0_7 Depth=1
	s_and_not1_saveexec_b32 s86, s86
; %bb.3526:                             ;   in Loop: Header=BB0_7 Depth=1
	s_delay_alu instid0(VALU_DEP_1)
	v_add_nc_u32_e32 v1, 0x68000000, v1
; %bb.3527:                             ;   in Loop: Header=BB0_7 Depth=1
	s_or_b32 exec_lo, exec_lo, s86
.LBB0_3528:                             ;   in Loop: Header=BB0_7 Depth=1
	s_and_not1_saveexec_b32 s85, s85
; %bb.3529:                             ;   in Loop: Header=BB0_7 Depth=1
	s_delay_alu instid0(VALU_DEP_1)
	v_add_nc_u32_e32 v1, 0x6c000000, v1
; %bb.3530:                             ;   in Loop: Header=BB0_7 Depth=1
	s_or_b32 exec_lo, exec_lo, s85
.LBB0_3531:                             ;   in Loop: Header=BB0_7 Depth=1
	s_and_not1_saveexec_b32 s84, s84
; %bb.3532:                             ;   in Loop: Header=BB0_7 Depth=1
	s_delay_alu instid0(VALU_DEP_1)
	v_add_nc_u32_e32 v1, 0x70000000, v1
; %bb.3533:                             ;   in Loop: Header=BB0_7 Depth=1
	s_or_b32 exec_lo, exec_lo, s84
.LBB0_3534:                             ;   in Loop: Header=BB0_7 Depth=1
	s_and_not1_saveexec_b32 s83, s83
; %bb.3535:                             ;   in Loop: Header=BB0_7 Depth=1
	s_delay_alu instid0(VALU_DEP_1)
	v_add_nc_u32_e32 v1, 0x74000000, v1
; %bb.3536:                             ;   in Loop: Header=BB0_7 Depth=1
	s_or_b32 exec_lo, exec_lo, s83
.LBB0_3537:                             ;   in Loop: Header=BB0_7 Depth=1
	s_and_not1_saveexec_b32 s82, s82
; %bb.3538:                             ;   in Loop: Header=BB0_7 Depth=1
	s_delay_alu instid0(VALU_DEP_1)
	v_add_nc_u32_e32 v1, 0x78000000, v1
; %bb.3539:                             ;   in Loop: Header=BB0_7 Depth=1
	s_or_b32 exec_lo, exec_lo, s82
.LBB0_3540:                             ;   in Loop: Header=BB0_7 Depth=1
	s_and_not1_saveexec_b32 s81, s81
; %bb.3541:                             ;   in Loop: Header=BB0_7 Depth=1
	s_delay_alu instid0(VALU_DEP_1)
	v_add_nc_u32_e32 v1, 0x7c000000, v1
; %bb.3542:                             ;   in Loop: Header=BB0_7 Depth=1
	s_or_b32 exec_lo, exec_lo, s81
.LBB0_3543:                             ;   in Loop: Header=BB0_7 Depth=1
	s_delay_alu instid0(SALU_CYCLE_1)
	s_or_b32 exec_lo, exec_lo, s80
	v_lshl_add_u32 v8, s63, 12, v10
	v_mov_b32_e32 v11, 0x7c
	s_or_b32 s80, s33, 32
	s_mov_b32 s63, exec_lo
	global_store_b32 v8, v1, s[34:35] scale_offset
	s_wait_xcnt 0x0
	v_cmpx_lt_u32_e64 s80, v0
	s_cbranch_execz .LBB0_3607
; %bb.3544:                             ;   in Loop: Header=BB0_7 Depth=1
	s_add_co_i32 s81, s62, 0
	v_mov_b32_e32 v11, 0x7c
	v_mov_b32_e32 v1, s81
	s_mov_b32 s81, exec_lo
	ds_load_2addr_b64 v[12:15], v1 offset0:96 offset1:97
	ds_load_b64 v[16:17], v1 offset:784
	s_wait_dscnt 0x1
	v_mul_f64_e32 v[8:9], v[4:5], v[14:15]
	s_delay_alu instid0(VALU_DEP_1) | instskip(SKIP_1) | instid1(VALU_DEP_1)
	v_fmac_f64_e32 v[8:9], v[2:3], v[12:13]
	s_wait_dscnt 0x0
	v_fmac_f64_e32 v[8:9], v[6:7], v[16:17]
	s_delay_alu instid0(VALU_DEP_1)
	v_cmpx_ngt_f64_e32 s[60:61], v[8:9]
	s_cbranch_execz .LBB0_3606
; %bb.3545:                             ;   in Loop: Header=BB0_7 Depth=1
	v_mov_b32_e32 v11, 0x78
	s_mov_b32 s82, exec_lo
	v_cmpx_ngt_f64_e32 s[66:67], v[8:9]
	s_cbranch_execz .LBB0_3605
; %bb.3546:                             ;   in Loop: Header=BB0_7 Depth=1
	v_mov_b32_e32 v11, 0x74
	s_mov_b32 s83, exec_lo
	;; [unrolled: 5-line block ×21, first 2 shown]
	v_cmpx_ngt_f64_e32 s[18:19], v[8:9]
	s_cbranch_execz .LBB0_3585
; %bb.3566:                             ;   in Loop: Header=BB0_7 Depth=1
	v_mov_b32_e32 v11, 36
	v_cmp_ngt_f64_e32 vcc_lo, s[16:17], v[8:9]
	s_mov_b32 vcc_hi, exec_lo
	s_delay_alu instid0(SALU_CYCLE_1)
	s_and_b32 vcc_lo, vcc_hi, vcc_lo
	v_writelane_b32 v18, vcc_hi, 0
	s_mov_b32 exec_lo, vcc_lo
	s_cbranch_execz .LBB0_3584
; %bb.3567:                             ;   in Loop: Header=BB0_7 Depth=1
	v_mov_b32_e32 v11, 32
	v_cmp_ngt_f64_e32 vcc_lo, s[50:51], v[8:9]
	s_mov_b32 vcc_hi, exec_lo
	s_delay_alu instid0(SALU_CYCLE_1)
	s_and_b32 vcc_lo, vcc_hi, vcc_lo
	v_writelane_b32 v18, vcc_hi, 1
	s_mov_b32 exec_lo, vcc_lo
	;; [unrolled: 9-line block ×8, first 2 shown]
	s_cbranch_execz .LBB0_3577
; %bb.3574:                             ;   in Loop: Header=BB0_7 Depth=1
	v_mov_b32_e32 v11, 0
	s_mov_b32 vcc_hi, exec_lo
	v_cmpx_gt_f64_e32 s[36:37], v[8:9]
; %bb.3575:                             ;   in Loop: Header=BB0_7 Depth=1
	v_mov_b32_e32 v11, 4
; %bb.3576:                             ;   in Loop: Header=BB0_7 Depth=1
	s_or_b32 exec_lo, exec_lo, vcc_hi
.LBB0_3577:                             ;   in Loop: Header=BB0_7 Depth=1
	s_delay_alu instid0(VALU_DEP_1)
	v_readlane_b32 vcc_lo, v18, 8
	s_or_b32 exec_lo, exec_lo, vcc_lo
.LBB0_3578:                             ;   in Loop: Header=BB0_7 Depth=1
	s_delay_alu instid0(VALU_DEP_1)
	v_readlane_b32 vcc_lo, v18, 6
	s_or_b32 exec_lo, exec_lo, vcc_lo
.LBB0_3579:                             ;   in Loop: Header=BB0_7 Depth=1
	s_delay_alu instid0(VALU_DEP_1)
	v_readlane_b32 vcc_lo, v18, 5
	s_or_b32 exec_lo, exec_lo, vcc_lo
.LBB0_3580:                             ;   in Loop: Header=BB0_7 Depth=1
	s_delay_alu instid0(VALU_DEP_1)
	v_readlane_b32 vcc_lo, v18, 4
	s_or_b32 exec_lo, exec_lo, vcc_lo
.LBB0_3581:                             ;   in Loop: Header=BB0_7 Depth=1
	s_delay_alu instid0(VALU_DEP_1)
	v_readlane_b32 vcc_lo, v18, 3
	s_or_b32 exec_lo, exec_lo, vcc_lo
.LBB0_3582:                             ;   in Loop: Header=BB0_7 Depth=1
	s_delay_alu instid0(VALU_DEP_1)
	v_readlane_b32 vcc_lo, v18, 2
	s_or_b32 exec_lo, exec_lo, vcc_lo
.LBB0_3583:                             ;   in Loop: Header=BB0_7 Depth=1
	s_delay_alu instid0(VALU_DEP_1)
	v_readlane_b32 vcc_lo, v18, 1
	s_or_b32 exec_lo, exec_lo, vcc_lo
.LBB0_3584:                             ;   in Loop: Header=BB0_7 Depth=1
	s_delay_alu instid0(VALU_DEP_1)
	v_readlane_b32 vcc_lo, v18, 0
	s_or_b32 exec_lo, exec_lo, vcc_lo
.LBB0_3585:                             ;   in Loop: Header=BB0_7 Depth=1
	s_delay_alu instid0(SALU_CYCLE_1)
	s_or_b32 exec_lo, exec_lo, s104
.LBB0_3586:                             ;   in Loop: Header=BB0_7 Depth=1
	s_delay_alu instid0(SALU_CYCLE_1)
	s_or_b32 exec_lo, exec_lo, s101
.LBB0_3587:                             ;   in Loop: Header=BB0_7 Depth=1
	s_delay_alu instid0(SALU_CYCLE_1)
	s_or_b32 exec_lo, exec_lo, s100
.LBB0_3588:                             ;   in Loop: Header=BB0_7 Depth=1
	s_delay_alu instid0(SALU_CYCLE_1)
	s_or_b32 exec_lo, exec_lo, s99
.LBB0_3589:                             ;   in Loop: Header=BB0_7 Depth=1
	s_delay_alu instid0(SALU_CYCLE_1)
	s_or_b32 exec_lo, exec_lo, s98
.LBB0_3590:                             ;   in Loop: Header=BB0_7 Depth=1
	s_delay_alu instid0(SALU_CYCLE_1)
	s_or_b32 exec_lo, exec_lo, s97
.LBB0_3591:                             ;   in Loop: Header=BB0_7 Depth=1
	s_delay_alu instid0(SALU_CYCLE_1)
	s_or_b32 exec_lo, exec_lo, s96
.LBB0_3592:                             ;   in Loop: Header=BB0_7 Depth=1
	s_delay_alu instid0(SALU_CYCLE_1)
	s_or_b32 exec_lo, exec_lo, s95
.LBB0_3593:                             ;   in Loop: Header=BB0_7 Depth=1
	s_delay_alu instid0(SALU_CYCLE_1)
	s_or_b32 exec_lo, exec_lo, s94
.LBB0_3594:                             ;   in Loop: Header=BB0_7 Depth=1
	s_delay_alu instid0(SALU_CYCLE_1)
	s_or_b32 exec_lo, exec_lo, s93
.LBB0_3595:                             ;   in Loop: Header=BB0_7 Depth=1
	s_delay_alu instid0(SALU_CYCLE_1)
	s_or_b32 exec_lo, exec_lo, s92
.LBB0_3596:                             ;   in Loop: Header=BB0_7 Depth=1
	s_delay_alu instid0(SALU_CYCLE_1)
	s_or_b32 exec_lo, exec_lo, s91
.LBB0_3597:                             ;   in Loop: Header=BB0_7 Depth=1
	s_delay_alu instid0(SALU_CYCLE_1)
	s_or_b32 exec_lo, exec_lo, s90
.LBB0_3598:                             ;   in Loop: Header=BB0_7 Depth=1
	s_delay_alu instid0(SALU_CYCLE_1)
	s_or_b32 exec_lo, exec_lo, s89
.LBB0_3599:                             ;   in Loop: Header=BB0_7 Depth=1
	s_delay_alu instid0(SALU_CYCLE_1)
	s_or_b32 exec_lo, exec_lo, s88
.LBB0_3600:                             ;   in Loop: Header=BB0_7 Depth=1
	s_delay_alu instid0(SALU_CYCLE_1)
	s_or_b32 exec_lo, exec_lo, s87
.LBB0_3601:                             ;   in Loop: Header=BB0_7 Depth=1
	s_delay_alu instid0(SALU_CYCLE_1)
	s_or_b32 exec_lo, exec_lo, s86
.LBB0_3602:                             ;   in Loop: Header=BB0_7 Depth=1
	s_delay_alu instid0(SALU_CYCLE_1)
	s_or_b32 exec_lo, exec_lo, s85
.LBB0_3603:                             ;   in Loop: Header=BB0_7 Depth=1
	s_delay_alu instid0(SALU_CYCLE_1)
	s_or_b32 exec_lo, exec_lo, s84
.LBB0_3604:                             ;   in Loop: Header=BB0_7 Depth=1
	s_delay_alu instid0(SALU_CYCLE_1)
	s_or_b32 exec_lo, exec_lo, s83
.LBB0_3605:                             ;   in Loop: Header=BB0_7 Depth=1
	s_delay_alu instid0(SALU_CYCLE_1)
	s_or_b32 exec_lo, exec_lo, s82
.LBB0_3606:                             ;   in Loop: Header=BB0_7 Depth=1
	s_delay_alu instid0(SALU_CYCLE_1)
	s_or_b32 exec_lo, exec_lo, s81
.LBB0_3607:                             ;   in Loop: Header=BB0_7 Depth=1
	s_delay_alu instid0(SALU_CYCLE_1) | instskip(SKIP_1) | instid1(SALU_CYCLE_1)
	s_or_b32 exec_lo, exec_lo, s63
	s_or_b32 s63, s33, 33
	v_cmp_ge_u32_e32 vcc_lo, s63, v0
	s_and_saveexec_b32 s63, vcc_lo
	s_delay_alu instid0(SALU_CYCLE_1)
	s_xor_b32 s63, exec_lo, s63
; %bb.3608:                             ;   in Loop: Header=BB0_7 Depth=1
	v_or_b32_e32 v11, 0x7c00, v11
; %bb.3609:                             ;   in Loop: Header=BB0_7 Depth=1
	s_and_not1_saveexec_b32 s63, s63
	s_cbranch_execz .LBB0_3733
; %bb.3610:                             ;   in Loop: Header=BB0_7 Depth=1
	s_add_co_i32 s81, s62, 0
	s_delay_alu instid0(SALU_CYCLE_1)
	v_mov_b32_e32 v1, s81
	s_mov_b32 s81, exec_lo
	ds_load_2addr_b64 v[12:15], v1 offset0:99 offset1:100
	ds_load_b64 v[16:17], v1 offset:808
	s_wait_dscnt 0x1
	v_mul_f64_e32 v[8:9], v[4:5], v[14:15]
	s_delay_alu instid0(VALU_DEP_1) | instskip(SKIP_1) | instid1(VALU_DEP_1)
	v_fmac_f64_e32 v[8:9], v[2:3], v[12:13]
	s_wait_dscnt 0x0
	v_fmac_f64_e32 v[8:9], v[6:7], v[16:17]
	s_delay_alu instid0(VALU_DEP_1)
	v_cmpx_ngt_f64_e32 s[60:61], v[8:9]
	s_xor_b32 s81, exec_lo, s81
	s_cbranch_execz .LBB0_3730
; %bb.3611:                             ;   in Loop: Header=BB0_7 Depth=1
	s_mov_b32 s82, exec_lo
	v_cmpx_ngt_f64_e32 s[66:67], v[8:9]
	s_xor_b32 s82, exec_lo, s82
	s_cbranch_execz .LBB0_3727
; %bb.3612:                             ;   in Loop: Header=BB0_7 Depth=1
	s_mov_b32 s83, exec_lo
	;; [unrolled: 5-line block ×21, first 2 shown]
	v_cmpx_ngt_f64_e32 s[18:19], v[8:9]
	s_xor_b32 s104, exec_lo, s104
	s_cbranch_execz .LBB0_3667
; %bb.3632:                             ;   in Loop: Header=BB0_7 Depth=1
	s_mov_b32 vcc_hi, exec_lo
	v_cmpx_ngt_f64_e32 s[16:17], v[8:9]
	s_xor_b32 vcc_hi, exec_lo, vcc_hi
	s_delay_alu instid0(SALU_CYCLE_1)
	v_writelane_b32 v18, vcc_hi, 0
	s_cbranch_execz .LBB0_3664
; %bb.3633:                             ;   in Loop: Header=BB0_7 Depth=1
	s_mov_b32 vcc_hi, exec_lo
	v_cmpx_ngt_f64_e32 s[50:51], v[8:9]
	s_xor_b32 vcc_hi, exec_lo, vcc_hi
	s_delay_alu instid0(SALU_CYCLE_1)
	v_writelane_b32 v18, vcc_hi, 1
	;; [unrolled: 7-line block ×8, first 2 shown]
	s_cbranch_execz .LBB0_3643
; %bb.3640:                             ;   in Loop: Header=BB0_7 Depth=1
	s_mov_b32 vcc_lo, exec_lo
	v_cmpx_gt_f64_e32 s[36:37], v[8:9]
; %bb.3641:                             ;   in Loop: Header=BB0_7 Depth=1
	v_or_b32_e32 v11, 0x400, v11
; %bb.3642:                             ;   in Loop: Header=BB0_7 Depth=1
	s_or_b32 exec_lo, exec_lo, vcc_lo
.LBB0_3643:                             ;   in Loop: Header=BB0_7 Depth=1
	s_delay_alu instid0(VALU_DEP_1)
	v_readlane_b32 vcc_lo, v18, 8
	s_and_not1_saveexec_b32 vcc_lo, vcc_lo
; %bb.3644:                             ;   in Loop: Header=BB0_7 Depth=1
	v_or_b32_e32 v11, 0x800, v11
; %bb.3645:                             ;   in Loop: Header=BB0_7 Depth=1
	s_or_b32 exec_lo, exec_lo, vcc_lo
.LBB0_3646:                             ;   in Loop: Header=BB0_7 Depth=1
	s_delay_alu instid0(VALU_DEP_1)
	v_readlane_b32 vcc_lo, v18, 6
	s_and_not1_saveexec_b32 vcc_lo, vcc_lo
; %bb.3647:                             ;   in Loop: Header=BB0_7 Depth=1
	v_or_b32_e32 v11, 0xc00, v11
; %bb.3648:                             ;   in Loop: Header=BB0_7 Depth=1
	s_or_b32 exec_lo, exec_lo, vcc_lo
.LBB0_3649:                             ;   in Loop: Header=BB0_7 Depth=1
	s_delay_alu instid0(VALU_DEP_1)
	v_readlane_b32 vcc_lo, v18, 5
	s_and_not1_saveexec_b32 vcc_lo, vcc_lo
; %bb.3650:                             ;   in Loop: Header=BB0_7 Depth=1
	v_or_b32_e32 v11, 0x1000, v11
; %bb.3651:                             ;   in Loop: Header=BB0_7 Depth=1
	s_or_b32 exec_lo, exec_lo, vcc_lo
.LBB0_3652:                             ;   in Loop: Header=BB0_7 Depth=1
	s_delay_alu instid0(VALU_DEP_1)
	v_readlane_b32 vcc_lo, v18, 4
	s_and_not1_saveexec_b32 vcc_lo, vcc_lo
; %bb.3653:                             ;   in Loop: Header=BB0_7 Depth=1
	v_or_b32_e32 v11, 0x1400, v11
; %bb.3654:                             ;   in Loop: Header=BB0_7 Depth=1
	s_or_b32 exec_lo, exec_lo, vcc_lo
.LBB0_3655:                             ;   in Loop: Header=BB0_7 Depth=1
	s_delay_alu instid0(VALU_DEP_1)
	v_readlane_b32 vcc_lo, v18, 3
	s_and_not1_saveexec_b32 vcc_lo, vcc_lo
; %bb.3656:                             ;   in Loop: Header=BB0_7 Depth=1
	v_or_b32_e32 v11, 0x1800, v11
; %bb.3657:                             ;   in Loop: Header=BB0_7 Depth=1
	s_or_b32 exec_lo, exec_lo, vcc_lo
.LBB0_3658:                             ;   in Loop: Header=BB0_7 Depth=1
	s_delay_alu instid0(VALU_DEP_1)
	v_readlane_b32 vcc_lo, v18, 2
	s_and_not1_saveexec_b32 vcc_lo, vcc_lo
; %bb.3659:                             ;   in Loop: Header=BB0_7 Depth=1
	v_or_b32_e32 v11, 0x1c00, v11
; %bb.3660:                             ;   in Loop: Header=BB0_7 Depth=1
	s_or_b32 exec_lo, exec_lo, vcc_lo
.LBB0_3661:                             ;   in Loop: Header=BB0_7 Depth=1
	s_delay_alu instid0(VALU_DEP_1)
	v_readlane_b32 vcc_lo, v18, 1
	s_and_not1_saveexec_b32 vcc_lo, vcc_lo
; %bb.3662:                             ;   in Loop: Header=BB0_7 Depth=1
	v_or_b32_e32 v11, 0x2000, v11
; %bb.3663:                             ;   in Loop: Header=BB0_7 Depth=1
	s_or_b32 exec_lo, exec_lo, vcc_lo
.LBB0_3664:                             ;   in Loop: Header=BB0_7 Depth=1
	s_delay_alu instid0(VALU_DEP_1)
	v_readlane_b32 vcc_lo, v18, 0
	s_and_not1_saveexec_b32 vcc_lo, vcc_lo
; %bb.3665:                             ;   in Loop: Header=BB0_7 Depth=1
	v_or_b32_e32 v11, 0x2400, v11
; %bb.3666:                             ;   in Loop: Header=BB0_7 Depth=1
	s_or_b32 exec_lo, exec_lo, vcc_lo
.LBB0_3667:                             ;   in Loop: Header=BB0_7 Depth=1
	s_and_not1_saveexec_b32 s104, s104
; %bb.3668:                             ;   in Loop: Header=BB0_7 Depth=1
	s_delay_alu instid0(VALU_DEP_1)
	v_or_b32_e32 v11, 0x2800, v11
; %bb.3669:                             ;   in Loop: Header=BB0_7 Depth=1
	s_or_b32 exec_lo, exec_lo, s104
.LBB0_3670:                             ;   in Loop: Header=BB0_7 Depth=1
	s_and_not1_saveexec_b32 s101, s101
; %bb.3671:                             ;   in Loop: Header=BB0_7 Depth=1
	s_delay_alu instid0(VALU_DEP_1)
	v_or_b32_e32 v11, 0x2c00, v11
; %bb.3672:                             ;   in Loop: Header=BB0_7 Depth=1
	s_or_b32 exec_lo, exec_lo, s101
.LBB0_3673:                             ;   in Loop: Header=BB0_7 Depth=1
	s_and_not1_saveexec_b32 s100, s100
; %bb.3674:                             ;   in Loop: Header=BB0_7 Depth=1
	s_delay_alu instid0(VALU_DEP_1)
	v_or_b32_e32 v11, 0x3000, v11
; %bb.3675:                             ;   in Loop: Header=BB0_7 Depth=1
	s_or_b32 exec_lo, exec_lo, s100
.LBB0_3676:                             ;   in Loop: Header=BB0_7 Depth=1
	s_and_not1_saveexec_b32 s99, s99
; %bb.3677:                             ;   in Loop: Header=BB0_7 Depth=1
	s_delay_alu instid0(VALU_DEP_1)
	v_or_b32_e32 v11, 0x3400, v11
; %bb.3678:                             ;   in Loop: Header=BB0_7 Depth=1
	s_or_b32 exec_lo, exec_lo, s99
.LBB0_3679:                             ;   in Loop: Header=BB0_7 Depth=1
	s_and_not1_saveexec_b32 s98, s98
; %bb.3680:                             ;   in Loop: Header=BB0_7 Depth=1
	s_delay_alu instid0(VALU_DEP_1)
	v_or_b32_e32 v11, 0x3800, v11
; %bb.3681:                             ;   in Loop: Header=BB0_7 Depth=1
	s_or_b32 exec_lo, exec_lo, s98
.LBB0_3682:                             ;   in Loop: Header=BB0_7 Depth=1
	s_and_not1_saveexec_b32 s97, s97
; %bb.3683:                             ;   in Loop: Header=BB0_7 Depth=1
	s_delay_alu instid0(VALU_DEP_1)
	v_or_b32_e32 v11, 0x3c00, v11
; %bb.3684:                             ;   in Loop: Header=BB0_7 Depth=1
	s_or_b32 exec_lo, exec_lo, s97
.LBB0_3685:                             ;   in Loop: Header=BB0_7 Depth=1
	s_and_not1_saveexec_b32 s96, s96
; %bb.3686:                             ;   in Loop: Header=BB0_7 Depth=1
	s_delay_alu instid0(VALU_DEP_1)
	v_or_b32_e32 v11, 0x4000, v11
; %bb.3687:                             ;   in Loop: Header=BB0_7 Depth=1
	s_or_b32 exec_lo, exec_lo, s96
.LBB0_3688:                             ;   in Loop: Header=BB0_7 Depth=1
	s_and_not1_saveexec_b32 s95, s95
; %bb.3689:                             ;   in Loop: Header=BB0_7 Depth=1
	s_delay_alu instid0(VALU_DEP_1)
	v_or_b32_e32 v11, 0x4400, v11
; %bb.3690:                             ;   in Loop: Header=BB0_7 Depth=1
	s_or_b32 exec_lo, exec_lo, s95
.LBB0_3691:                             ;   in Loop: Header=BB0_7 Depth=1
	s_and_not1_saveexec_b32 s94, s94
; %bb.3692:                             ;   in Loop: Header=BB0_7 Depth=1
	s_delay_alu instid0(VALU_DEP_1)
	v_or_b32_e32 v11, 0x4800, v11
; %bb.3693:                             ;   in Loop: Header=BB0_7 Depth=1
	s_or_b32 exec_lo, exec_lo, s94
.LBB0_3694:                             ;   in Loop: Header=BB0_7 Depth=1
	s_and_not1_saveexec_b32 s93, s93
; %bb.3695:                             ;   in Loop: Header=BB0_7 Depth=1
	s_delay_alu instid0(VALU_DEP_1)
	v_or_b32_e32 v11, 0x4c00, v11
; %bb.3696:                             ;   in Loop: Header=BB0_7 Depth=1
	s_or_b32 exec_lo, exec_lo, s93
.LBB0_3697:                             ;   in Loop: Header=BB0_7 Depth=1
	s_and_not1_saveexec_b32 s92, s92
; %bb.3698:                             ;   in Loop: Header=BB0_7 Depth=1
	s_delay_alu instid0(VALU_DEP_1)
	v_or_b32_e32 v11, 0x5000, v11
; %bb.3699:                             ;   in Loop: Header=BB0_7 Depth=1
	s_or_b32 exec_lo, exec_lo, s92
.LBB0_3700:                             ;   in Loop: Header=BB0_7 Depth=1
	s_and_not1_saveexec_b32 s91, s91
; %bb.3701:                             ;   in Loop: Header=BB0_7 Depth=1
	s_delay_alu instid0(VALU_DEP_1)
	v_or_b32_e32 v11, 0x5400, v11
; %bb.3702:                             ;   in Loop: Header=BB0_7 Depth=1
	s_or_b32 exec_lo, exec_lo, s91
.LBB0_3703:                             ;   in Loop: Header=BB0_7 Depth=1
	s_and_not1_saveexec_b32 s90, s90
; %bb.3704:                             ;   in Loop: Header=BB0_7 Depth=1
	s_delay_alu instid0(VALU_DEP_1)
	v_or_b32_e32 v11, 0x5800, v11
; %bb.3705:                             ;   in Loop: Header=BB0_7 Depth=1
	s_or_b32 exec_lo, exec_lo, s90
.LBB0_3706:                             ;   in Loop: Header=BB0_7 Depth=1
	s_and_not1_saveexec_b32 s89, s89
; %bb.3707:                             ;   in Loop: Header=BB0_7 Depth=1
	s_delay_alu instid0(VALU_DEP_1)
	v_or_b32_e32 v11, 0x5c00, v11
; %bb.3708:                             ;   in Loop: Header=BB0_7 Depth=1
	s_or_b32 exec_lo, exec_lo, s89
.LBB0_3709:                             ;   in Loop: Header=BB0_7 Depth=1
	s_and_not1_saveexec_b32 s88, s88
; %bb.3710:                             ;   in Loop: Header=BB0_7 Depth=1
	s_delay_alu instid0(VALU_DEP_1)
	v_or_b32_e32 v11, 0x6000, v11
; %bb.3711:                             ;   in Loop: Header=BB0_7 Depth=1
	s_or_b32 exec_lo, exec_lo, s88
.LBB0_3712:                             ;   in Loop: Header=BB0_7 Depth=1
	s_and_not1_saveexec_b32 s87, s87
; %bb.3713:                             ;   in Loop: Header=BB0_7 Depth=1
	s_delay_alu instid0(VALU_DEP_1)
	v_or_b32_e32 v11, 0x6400, v11
; %bb.3714:                             ;   in Loop: Header=BB0_7 Depth=1
	s_or_b32 exec_lo, exec_lo, s87
.LBB0_3715:                             ;   in Loop: Header=BB0_7 Depth=1
	s_and_not1_saveexec_b32 s86, s86
; %bb.3716:                             ;   in Loop: Header=BB0_7 Depth=1
	s_delay_alu instid0(VALU_DEP_1)
	v_or_b32_e32 v11, 0x6800, v11
; %bb.3717:                             ;   in Loop: Header=BB0_7 Depth=1
	s_or_b32 exec_lo, exec_lo, s86
.LBB0_3718:                             ;   in Loop: Header=BB0_7 Depth=1
	s_and_not1_saveexec_b32 s85, s85
; %bb.3719:                             ;   in Loop: Header=BB0_7 Depth=1
	s_delay_alu instid0(VALU_DEP_1)
	v_or_b32_e32 v11, 0x6c00, v11
; %bb.3720:                             ;   in Loop: Header=BB0_7 Depth=1
	s_or_b32 exec_lo, exec_lo, s85
.LBB0_3721:                             ;   in Loop: Header=BB0_7 Depth=1
	s_and_not1_saveexec_b32 s84, s84
; %bb.3722:                             ;   in Loop: Header=BB0_7 Depth=1
	s_delay_alu instid0(VALU_DEP_1)
	v_or_b32_e32 v11, 0x7000, v11
; %bb.3723:                             ;   in Loop: Header=BB0_7 Depth=1
	s_or_b32 exec_lo, exec_lo, s84
.LBB0_3724:                             ;   in Loop: Header=BB0_7 Depth=1
	s_and_not1_saveexec_b32 s83, s83
; %bb.3725:                             ;   in Loop: Header=BB0_7 Depth=1
	s_delay_alu instid0(VALU_DEP_1)
	v_or_b32_e32 v11, 0x7400, v11
; %bb.3726:                             ;   in Loop: Header=BB0_7 Depth=1
	s_or_b32 exec_lo, exec_lo, s83
.LBB0_3727:                             ;   in Loop: Header=BB0_7 Depth=1
	s_and_not1_saveexec_b32 s82, s82
; %bb.3728:                             ;   in Loop: Header=BB0_7 Depth=1
	s_delay_alu instid0(VALU_DEP_1)
	v_or_b32_e32 v11, 0x7800, v11
; %bb.3729:                             ;   in Loop: Header=BB0_7 Depth=1
	s_or_b32 exec_lo, exec_lo, s82
.LBB0_3730:                             ;   in Loop: Header=BB0_7 Depth=1
	s_and_not1_saveexec_b32 s81, s81
; %bb.3731:                             ;   in Loop: Header=BB0_7 Depth=1
	s_delay_alu instid0(VALU_DEP_1)
	v_or_b32_e32 v11, 0x7c00, v11
; %bb.3732:                             ;   in Loop: Header=BB0_7 Depth=1
	s_or_b32 exec_lo, exec_lo, s81
.LBB0_3733:                             ;   in Loop: Header=BB0_7 Depth=1
	s_delay_alu instid0(SALU_CYCLE_1) | instskip(SKIP_1) | instid1(SALU_CYCLE_1)
	s_or_b32 exec_lo, exec_lo, s63
	s_or_b32 s63, s33, 34
	v_cmp_ge_u32_e32 vcc_lo, s63, v0
	s_and_saveexec_b32 s63, vcc_lo
	s_delay_alu instid0(SALU_CYCLE_1)
	s_xor_b32 s63, exec_lo, s63
; %bb.3734:                             ;   in Loop: Header=BB0_7 Depth=1
	v_add_nc_u32_e32 v11, 0x7c0000, v11
; %bb.3735:                             ;   in Loop: Header=BB0_7 Depth=1
	s_and_not1_saveexec_b32 s63, s63
	s_cbranch_execz .LBB0_3859
; %bb.3736:                             ;   in Loop: Header=BB0_7 Depth=1
	s_add_co_i32 s81, s62, 0
	s_delay_alu instid0(SALU_CYCLE_1)
	v_mov_b32_e32 v1, s81
	s_mov_b32 s81, exec_lo
	ds_load_2addr_b64 v[12:15], v1 offset0:102 offset1:103
	ds_load_b64 v[16:17], v1 offset:832
	s_wait_dscnt 0x1
	v_mul_f64_e32 v[8:9], v[4:5], v[14:15]
	s_delay_alu instid0(VALU_DEP_1) | instskip(SKIP_1) | instid1(VALU_DEP_1)
	v_fmac_f64_e32 v[8:9], v[2:3], v[12:13]
	s_wait_dscnt 0x0
	v_fmac_f64_e32 v[8:9], v[6:7], v[16:17]
	s_delay_alu instid0(VALU_DEP_1)
	v_cmpx_ngt_f64_e32 s[60:61], v[8:9]
	s_xor_b32 s81, exec_lo, s81
	s_cbranch_execz .LBB0_3856
; %bb.3737:                             ;   in Loop: Header=BB0_7 Depth=1
	s_mov_b32 s82, exec_lo
	v_cmpx_ngt_f64_e32 s[66:67], v[8:9]
	s_xor_b32 s82, exec_lo, s82
	s_cbranch_execz .LBB0_3853
; %bb.3738:                             ;   in Loop: Header=BB0_7 Depth=1
	s_mov_b32 s83, exec_lo
	;; [unrolled: 5-line block ×21, first 2 shown]
	v_cmpx_ngt_f64_e32 s[18:19], v[8:9]
	s_xor_b32 s104, exec_lo, s104
	s_cbranch_execz .LBB0_3793
; %bb.3758:                             ;   in Loop: Header=BB0_7 Depth=1
	s_mov_b32 vcc_hi, exec_lo
	v_cmpx_ngt_f64_e32 s[16:17], v[8:9]
	s_xor_b32 vcc_hi, exec_lo, vcc_hi
	s_delay_alu instid0(SALU_CYCLE_1)
	v_writelane_b32 v18, vcc_hi, 0
	s_cbranch_execz .LBB0_3790
; %bb.3759:                             ;   in Loop: Header=BB0_7 Depth=1
	s_mov_b32 vcc_hi, exec_lo
	v_cmpx_ngt_f64_e32 s[50:51], v[8:9]
	s_xor_b32 vcc_hi, exec_lo, vcc_hi
	s_delay_alu instid0(SALU_CYCLE_1)
	v_writelane_b32 v18, vcc_hi, 1
	;; [unrolled: 7-line block ×8, first 2 shown]
	s_cbranch_execz .LBB0_3769
; %bb.3766:                             ;   in Loop: Header=BB0_7 Depth=1
	s_mov_b32 vcc_lo, exec_lo
	v_cmpx_gt_f64_e32 s[36:37], v[8:9]
; %bb.3767:                             ;   in Loop: Header=BB0_7 Depth=1
	v_add_nc_u32_e32 v11, 0x40000, v11
; %bb.3768:                             ;   in Loop: Header=BB0_7 Depth=1
	s_or_b32 exec_lo, exec_lo, vcc_lo
.LBB0_3769:                             ;   in Loop: Header=BB0_7 Depth=1
	s_delay_alu instid0(VALU_DEP_1)
	v_readlane_b32 vcc_lo, v18, 8
	s_and_not1_saveexec_b32 vcc_lo, vcc_lo
; %bb.3770:                             ;   in Loop: Header=BB0_7 Depth=1
	v_add_nc_u32_e32 v11, 0x80000, v11
; %bb.3771:                             ;   in Loop: Header=BB0_7 Depth=1
	s_or_b32 exec_lo, exec_lo, vcc_lo
.LBB0_3772:                             ;   in Loop: Header=BB0_7 Depth=1
	s_delay_alu instid0(VALU_DEP_1)
	v_readlane_b32 vcc_lo, v18, 6
	s_and_not1_saveexec_b32 vcc_lo, vcc_lo
; %bb.3773:                             ;   in Loop: Header=BB0_7 Depth=1
	v_add_nc_u32_e32 v11, 0xc0000, v11
; %bb.3774:                             ;   in Loop: Header=BB0_7 Depth=1
	s_or_b32 exec_lo, exec_lo, vcc_lo
.LBB0_3775:                             ;   in Loop: Header=BB0_7 Depth=1
	s_delay_alu instid0(VALU_DEP_1)
	v_readlane_b32 vcc_lo, v18, 5
	s_and_not1_saveexec_b32 vcc_lo, vcc_lo
; %bb.3776:                             ;   in Loop: Header=BB0_7 Depth=1
	v_add_nc_u32_e32 v11, 0x100000, v11
; %bb.3777:                             ;   in Loop: Header=BB0_7 Depth=1
	s_or_b32 exec_lo, exec_lo, vcc_lo
.LBB0_3778:                             ;   in Loop: Header=BB0_7 Depth=1
	s_delay_alu instid0(VALU_DEP_1)
	v_readlane_b32 vcc_lo, v18, 4
	s_and_not1_saveexec_b32 vcc_lo, vcc_lo
; %bb.3779:                             ;   in Loop: Header=BB0_7 Depth=1
	v_add_nc_u32_e32 v11, 0x140000, v11
; %bb.3780:                             ;   in Loop: Header=BB0_7 Depth=1
	s_or_b32 exec_lo, exec_lo, vcc_lo
.LBB0_3781:                             ;   in Loop: Header=BB0_7 Depth=1
	s_delay_alu instid0(VALU_DEP_1)
	v_readlane_b32 vcc_lo, v18, 3
	s_and_not1_saveexec_b32 vcc_lo, vcc_lo
; %bb.3782:                             ;   in Loop: Header=BB0_7 Depth=1
	v_add_nc_u32_e32 v11, 0x180000, v11
; %bb.3783:                             ;   in Loop: Header=BB0_7 Depth=1
	s_or_b32 exec_lo, exec_lo, vcc_lo
.LBB0_3784:                             ;   in Loop: Header=BB0_7 Depth=1
	s_delay_alu instid0(VALU_DEP_1)
	v_readlane_b32 vcc_lo, v18, 2
	s_and_not1_saveexec_b32 vcc_lo, vcc_lo
; %bb.3785:                             ;   in Loop: Header=BB0_7 Depth=1
	v_add_nc_u32_e32 v11, 0x1c0000, v11
; %bb.3786:                             ;   in Loop: Header=BB0_7 Depth=1
	s_or_b32 exec_lo, exec_lo, vcc_lo
.LBB0_3787:                             ;   in Loop: Header=BB0_7 Depth=1
	s_delay_alu instid0(VALU_DEP_1)
	v_readlane_b32 vcc_lo, v18, 1
	s_and_not1_saveexec_b32 vcc_lo, vcc_lo
; %bb.3788:                             ;   in Loop: Header=BB0_7 Depth=1
	v_add_nc_u32_e32 v11, 0x200000, v11
; %bb.3789:                             ;   in Loop: Header=BB0_7 Depth=1
	s_or_b32 exec_lo, exec_lo, vcc_lo
.LBB0_3790:                             ;   in Loop: Header=BB0_7 Depth=1
	s_delay_alu instid0(VALU_DEP_1)
	v_readlane_b32 vcc_lo, v18, 0
	s_and_not1_saveexec_b32 vcc_lo, vcc_lo
; %bb.3791:                             ;   in Loop: Header=BB0_7 Depth=1
	v_add_nc_u32_e32 v11, 0x240000, v11
; %bb.3792:                             ;   in Loop: Header=BB0_7 Depth=1
	s_or_b32 exec_lo, exec_lo, vcc_lo
.LBB0_3793:                             ;   in Loop: Header=BB0_7 Depth=1
	s_and_not1_saveexec_b32 s104, s104
; %bb.3794:                             ;   in Loop: Header=BB0_7 Depth=1
	s_delay_alu instid0(VALU_DEP_1)
	v_add_nc_u32_e32 v11, 0x280000, v11
; %bb.3795:                             ;   in Loop: Header=BB0_7 Depth=1
	s_or_b32 exec_lo, exec_lo, s104
.LBB0_3796:                             ;   in Loop: Header=BB0_7 Depth=1
	s_and_not1_saveexec_b32 s101, s101
; %bb.3797:                             ;   in Loop: Header=BB0_7 Depth=1
	s_delay_alu instid0(VALU_DEP_1)
	v_add_nc_u32_e32 v11, 0x2c0000, v11
; %bb.3798:                             ;   in Loop: Header=BB0_7 Depth=1
	s_or_b32 exec_lo, exec_lo, s101
.LBB0_3799:                             ;   in Loop: Header=BB0_7 Depth=1
	s_and_not1_saveexec_b32 s100, s100
; %bb.3800:                             ;   in Loop: Header=BB0_7 Depth=1
	s_delay_alu instid0(VALU_DEP_1)
	v_add_nc_u32_e32 v11, 0x300000, v11
; %bb.3801:                             ;   in Loop: Header=BB0_7 Depth=1
	s_or_b32 exec_lo, exec_lo, s100
.LBB0_3802:                             ;   in Loop: Header=BB0_7 Depth=1
	s_and_not1_saveexec_b32 s99, s99
; %bb.3803:                             ;   in Loop: Header=BB0_7 Depth=1
	s_delay_alu instid0(VALU_DEP_1)
	v_add_nc_u32_e32 v11, 0x340000, v11
; %bb.3804:                             ;   in Loop: Header=BB0_7 Depth=1
	s_or_b32 exec_lo, exec_lo, s99
.LBB0_3805:                             ;   in Loop: Header=BB0_7 Depth=1
	s_and_not1_saveexec_b32 s98, s98
; %bb.3806:                             ;   in Loop: Header=BB0_7 Depth=1
	s_delay_alu instid0(VALU_DEP_1)
	v_add_nc_u32_e32 v11, 0x380000, v11
; %bb.3807:                             ;   in Loop: Header=BB0_7 Depth=1
	s_or_b32 exec_lo, exec_lo, s98
.LBB0_3808:                             ;   in Loop: Header=BB0_7 Depth=1
	s_and_not1_saveexec_b32 s97, s97
; %bb.3809:                             ;   in Loop: Header=BB0_7 Depth=1
	s_delay_alu instid0(VALU_DEP_1)
	v_add_nc_u32_e32 v11, 0x3c0000, v11
; %bb.3810:                             ;   in Loop: Header=BB0_7 Depth=1
	s_or_b32 exec_lo, exec_lo, s97
.LBB0_3811:                             ;   in Loop: Header=BB0_7 Depth=1
	s_and_not1_saveexec_b32 s96, s96
; %bb.3812:                             ;   in Loop: Header=BB0_7 Depth=1
	s_delay_alu instid0(VALU_DEP_1)
	v_add_nc_u32_e32 v11, 0x400000, v11
; %bb.3813:                             ;   in Loop: Header=BB0_7 Depth=1
	s_or_b32 exec_lo, exec_lo, s96
.LBB0_3814:                             ;   in Loop: Header=BB0_7 Depth=1
	s_and_not1_saveexec_b32 s95, s95
; %bb.3815:                             ;   in Loop: Header=BB0_7 Depth=1
	s_delay_alu instid0(VALU_DEP_1)
	v_add_nc_u32_e32 v11, 0x440000, v11
; %bb.3816:                             ;   in Loop: Header=BB0_7 Depth=1
	s_or_b32 exec_lo, exec_lo, s95
.LBB0_3817:                             ;   in Loop: Header=BB0_7 Depth=1
	s_and_not1_saveexec_b32 s94, s94
; %bb.3818:                             ;   in Loop: Header=BB0_7 Depth=1
	s_delay_alu instid0(VALU_DEP_1)
	v_add_nc_u32_e32 v11, 0x480000, v11
; %bb.3819:                             ;   in Loop: Header=BB0_7 Depth=1
	s_or_b32 exec_lo, exec_lo, s94
.LBB0_3820:                             ;   in Loop: Header=BB0_7 Depth=1
	s_and_not1_saveexec_b32 s93, s93
; %bb.3821:                             ;   in Loop: Header=BB0_7 Depth=1
	s_delay_alu instid0(VALU_DEP_1)
	v_add_nc_u32_e32 v11, 0x4c0000, v11
; %bb.3822:                             ;   in Loop: Header=BB0_7 Depth=1
	s_or_b32 exec_lo, exec_lo, s93
.LBB0_3823:                             ;   in Loop: Header=BB0_7 Depth=1
	s_and_not1_saveexec_b32 s92, s92
; %bb.3824:                             ;   in Loop: Header=BB0_7 Depth=1
	s_delay_alu instid0(VALU_DEP_1)
	v_add_nc_u32_e32 v11, 0x500000, v11
; %bb.3825:                             ;   in Loop: Header=BB0_7 Depth=1
	s_or_b32 exec_lo, exec_lo, s92
.LBB0_3826:                             ;   in Loop: Header=BB0_7 Depth=1
	s_and_not1_saveexec_b32 s91, s91
; %bb.3827:                             ;   in Loop: Header=BB0_7 Depth=1
	s_delay_alu instid0(VALU_DEP_1)
	v_add_nc_u32_e32 v11, 0x540000, v11
; %bb.3828:                             ;   in Loop: Header=BB0_7 Depth=1
	s_or_b32 exec_lo, exec_lo, s91
.LBB0_3829:                             ;   in Loop: Header=BB0_7 Depth=1
	s_and_not1_saveexec_b32 s90, s90
; %bb.3830:                             ;   in Loop: Header=BB0_7 Depth=1
	s_delay_alu instid0(VALU_DEP_1)
	v_add_nc_u32_e32 v11, 0x580000, v11
; %bb.3831:                             ;   in Loop: Header=BB0_7 Depth=1
	s_or_b32 exec_lo, exec_lo, s90
.LBB0_3832:                             ;   in Loop: Header=BB0_7 Depth=1
	s_and_not1_saveexec_b32 s89, s89
; %bb.3833:                             ;   in Loop: Header=BB0_7 Depth=1
	s_delay_alu instid0(VALU_DEP_1)
	v_add_nc_u32_e32 v11, 0x5c0000, v11
; %bb.3834:                             ;   in Loop: Header=BB0_7 Depth=1
	s_or_b32 exec_lo, exec_lo, s89
.LBB0_3835:                             ;   in Loop: Header=BB0_7 Depth=1
	s_and_not1_saveexec_b32 s88, s88
; %bb.3836:                             ;   in Loop: Header=BB0_7 Depth=1
	s_delay_alu instid0(VALU_DEP_1)
	v_add_nc_u32_e32 v11, 0x600000, v11
; %bb.3837:                             ;   in Loop: Header=BB0_7 Depth=1
	s_or_b32 exec_lo, exec_lo, s88
.LBB0_3838:                             ;   in Loop: Header=BB0_7 Depth=1
	s_and_not1_saveexec_b32 s87, s87
; %bb.3839:                             ;   in Loop: Header=BB0_7 Depth=1
	s_delay_alu instid0(VALU_DEP_1)
	v_add_nc_u32_e32 v11, 0x640000, v11
; %bb.3840:                             ;   in Loop: Header=BB0_7 Depth=1
	s_or_b32 exec_lo, exec_lo, s87
.LBB0_3841:                             ;   in Loop: Header=BB0_7 Depth=1
	s_and_not1_saveexec_b32 s86, s86
; %bb.3842:                             ;   in Loop: Header=BB0_7 Depth=1
	s_delay_alu instid0(VALU_DEP_1)
	v_add_nc_u32_e32 v11, 0x680000, v11
; %bb.3843:                             ;   in Loop: Header=BB0_7 Depth=1
	s_or_b32 exec_lo, exec_lo, s86
.LBB0_3844:                             ;   in Loop: Header=BB0_7 Depth=1
	s_and_not1_saveexec_b32 s85, s85
; %bb.3845:                             ;   in Loop: Header=BB0_7 Depth=1
	s_delay_alu instid0(VALU_DEP_1)
	v_add_nc_u32_e32 v11, 0x6c0000, v11
; %bb.3846:                             ;   in Loop: Header=BB0_7 Depth=1
	s_or_b32 exec_lo, exec_lo, s85
.LBB0_3847:                             ;   in Loop: Header=BB0_7 Depth=1
	s_and_not1_saveexec_b32 s84, s84
; %bb.3848:                             ;   in Loop: Header=BB0_7 Depth=1
	s_delay_alu instid0(VALU_DEP_1)
	v_add_nc_u32_e32 v11, 0x700000, v11
; %bb.3849:                             ;   in Loop: Header=BB0_7 Depth=1
	s_or_b32 exec_lo, exec_lo, s84
.LBB0_3850:                             ;   in Loop: Header=BB0_7 Depth=1
	s_and_not1_saveexec_b32 s83, s83
; %bb.3851:                             ;   in Loop: Header=BB0_7 Depth=1
	s_delay_alu instid0(VALU_DEP_1)
	v_add_nc_u32_e32 v11, 0x740000, v11
; %bb.3852:                             ;   in Loop: Header=BB0_7 Depth=1
	s_or_b32 exec_lo, exec_lo, s83
.LBB0_3853:                             ;   in Loop: Header=BB0_7 Depth=1
	s_and_not1_saveexec_b32 s82, s82
; %bb.3854:                             ;   in Loop: Header=BB0_7 Depth=1
	s_delay_alu instid0(VALU_DEP_1)
	v_add_nc_u32_e32 v11, 0x780000, v11
; %bb.3855:                             ;   in Loop: Header=BB0_7 Depth=1
	s_or_b32 exec_lo, exec_lo, s82
.LBB0_3856:                             ;   in Loop: Header=BB0_7 Depth=1
	s_and_not1_saveexec_b32 s81, s81
; %bb.3857:                             ;   in Loop: Header=BB0_7 Depth=1
	s_delay_alu instid0(VALU_DEP_1)
	v_add_nc_u32_e32 v11, 0x7c0000, v11
; %bb.3858:                             ;   in Loop: Header=BB0_7 Depth=1
	s_or_b32 exec_lo, exec_lo, s81
.LBB0_3859:                             ;   in Loop: Header=BB0_7 Depth=1
	s_delay_alu instid0(SALU_CYCLE_1) | instskip(SKIP_1) | instid1(SALU_CYCLE_1)
	s_or_b32 exec_lo, exec_lo, s63
	s_or_b32 s63, s33, 35
	v_cmp_ge_u32_e32 vcc_lo, s63, v0
	s_and_saveexec_b32 s63, vcc_lo
	s_delay_alu instid0(SALU_CYCLE_1)
	s_xor_b32 s63, exec_lo, s63
; %bb.3860:                             ;   in Loop: Header=BB0_7 Depth=1
	v_add_nc_u32_e32 v11, 0x7c000000, v11
; %bb.3861:                             ;   in Loop: Header=BB0_7 Depth=1
	s_and_not1_saveexec_b32 s63, s63
	s_cbranch_execz .LBB0_3985
; %bb.3862:                             ;   in Loop: Header=BB0_7 Depth=1
	s_add_co_i32 s81, s62, 0
	s_delay_alu instid0(SALU_CYCLE_1)
	v_mov_b32_e32 v1, s81
	s_mov_b32 s81, exec_lo
	ds_load_2addr_b64 v[12:15], v1 offset0:105 offset1:106
	ds_load_b64 v[16:17], v1 offset:856
	s_wait_dscnt 0x1
	v_mul_f64_e32 v[8:9], v[4:5], v[14:15]
	s_delay_alu instid0(VALU_DEP_1) | instskip(SKIP_1) | instid1(VALU_DEP_1)
	v_fmac_f64_e32 v[8:9], v[2:3], v[12:13]
	s_wait_dscnt 0x0
	v_fmac_f64_e32 v[8:9], v[6:7], v[16:17]
	s_delay_alu instid0(VALU_DEP_1)
	v_cmpx_ngt_f64_e32 s[60:61], v[8:9]
	s_xor_b32 s81, exec_lo, s81
	s_cbranch_execz .LBB0_3982
; %bb.3863:                             ;   in Loop: Header=BB0_7 Depth=1
	s_mov_b32 s82, exec_lo
	v_cmpx_ngt_f64_e32 s[66:67], v[8:9]
	s_xor_b32 s82, exec_lo, s82
	s_cbranch_execz .LBB0_3979
; %bb.3864:                             ;   in Loop: Header=BB0_7 Depth=1
	s_mov_b32 s83, exec_lo
	v_cmpx_ngt_f64_e32 s[64:65], v[8:9]
	s_xor_b32 s83, exec_lo, s83
	s_cbranch_execz .LBB0_3976
; %bb.3865:                             ;   in Loop: Header=BB0_7 Depth=1
	s_mov_b32 s84, exec_lo
	v_cmpx_ngt_f64_e32 s[58:59], v[8:9]
	s_xor_b32 s84, exec_lo, s84
	s_cbranch_execz .LBB0_3973
; %bb.3866:                             ;   in Loop: Header=BB0_7 Depth=1
	s_mov_b32 s85, exec_lo
	v_cmpx_ngt_f64_e32 s[56:57], v[8:9]
	s_xor_b32 s85, exec_lo, s85
	s_cbranch_execz .LBB0_3970
; %bb.3867:                             ;   in Loop: Header=BB0_7 Depth=1
	s_mov_b32 s86, exec_lo
	v_cmpx_ngt_f64_e32 s[54:55], v[8:9]
	s_xor_b32 s86, exec_lo, s86
	s_cbranch_execz .LBB0_3967
; %bb.3868:                             ;   in Loop: Header=BB0_7 Depth=1
	s_mov_b32 s87, exec_lo
	v_cmpx_ngt_f64_e32 s[52:53], v[8:9]
	s_xor_b32 s87, exec_lo, s87
	s_cbranch_execz .LBB0_3964
; %bb.3869:                             ;   in Loop: Header=BB0_7 Depth=1
	s_mov_b32 s88, exec_lo
	v_cmpx_ngt_f64_e32 s[14:15], v[8:9]
	s_xor_b32 s88, exec_lo, s88
	s_cbranch_execz .LBB0_3961
; %bb.3870:                             ;   in Loop: Header=BB0_7 Depth=1
	s_mov_b32 s89, exec_lo
	v_cmpx_ngt_f64_e32 s[12:13], v[8:9]
	s_xor_b32 s89, exec_lo, s89
	s_cbranch_execz .LBB0_3958
; %bb.3871:                             ;   in Loop: Header=BB0_7 Depth=1
	s_mov_b32 s90, exec_lo
	v_cmpx_ngt_f64_e32 s[10:11], v[8:9]
	s_xor_b32 s90, exec_lo, s90
	s_cbranch_execz .LBB0_3955
; %bb.3872:                             ;   in Loop: Header=BB0_7 Depth=1
	s_mov_b32 s91, exec_lo
	v_cmpx_ngt_f64_e32 s[8:9], v[8:9]
	s_xor_b32 s91, exec_lo, s91
	s_cbranch_execz .LBB0_3952
; %bb.3873:                             ;   in Loop: Header=BB0_7 Depth=1
	s_mov_b32 s92, exec_lo
	v_cmpx_ngt_f64_e32 s[6:7], v[8:9]
	s_xor_b32 s92, exec_lo, s92
	s_cbranch_execz .LBB0_3949
; %bb.3874:                             ;   in Loop: Header=BB0_7 Depth=1
	s_mov_b32 s93, exec_lo
	v_cmpx_ngt_f64_e32 s[4:5], v[8:9]
	s_xor_b32 s93, exec_lo, s93
	s_cbranch_execz .LBB0_3946
; %bb.3875:                             ;   in Loop: Header=BB0_7 Depth=1
	s_mov_b32 s94, exec_lo
	v_cmpx_ngt_f64_e32 s[2:3], v[8:9]
	s_xor_b32 s94, exec_lo, s94
	s_cbranch_execz .LBB0_3943
; %bb.3876:                             ;   in Loop: Header=BB0_7 Depth=1
	s_mov_b32 s95, exec_lo
	v_cmpx_ngt_f64_e32 s[0:1], v[8:9]
	s_xor_b32 s95, exec_lo, s95
	s_cbranch_execz .LBB0_3940
; %bb.3877:                             ;   in Loop: Header=BB0_7 Depth=1
	s_mov_b32 s96, exec_lo
	v_cmpx_ngt_f64_e32 s[30:31], v[8:9]
	s_xor_b32 s96, exec_lo, s96
	s_cbranch_execz .LBB0_3937
; %bb.3878:                             ;   in Loop: Header=BB0_7 Depth=1
	s_mov_b32 s97, exec_lo
	v_cmpx_ngt_f64_e32 s[28:29], v[8:9]
	s_xor_b32 s97, exec_lo, s97
	s_cbranch_execz .LBB0_3934
; %bb.3879:                             ;   in Loop: Header=BB0_7 Depth=1
	s_mov_b32 s98, exec_lo
	v_cmpx_ngt_f64_e32 s[26:27], v[8:9]
	s_xor_b32 s98, exec_lo, s98
	s_cbranch_execz .LBB0_3931
; %bb.3880:                             ;   in Loop: Header=BB0_7 Depth=1
	s_mov_b32 s99, exec_lo
	v_cmpx_ngt_f64_e32 s[24:25], v[8:9]
	s_xor_b32 s99, exec_lo, s99
	s_cbranch_execz .LBB0_3928
; %bb.3881:                             ;   in Loop: Header=BB0_7 Depth=1
	s_mov_b32 s100, exec_lo
	v_cmpx_ngt_f64_e32 s[22:23], v[8:9]
	s_xor_b32 s100, exec_lo, s100
	s_cbranch_execz .LBB0_3925
; %bb.3882:                             ;   in Loop: Header=BB0_7 Depth=1
	s_mov_b32 s101, exec_lo
	v_cmpx_ngt_f64_e32 s[20:21], v[8:9]
	s_xor_b32 s101, exec_lo, s101
	s_cbranch_execz .LBB0_3922
; %bb.3883:                             ;   in Loop: Header=BB0_7 Depth=1
	s_mov_b32 s104, exec_lo
	v_cmpx_ngt_f64_e32 s[18:19], v[8:9]
	s_xor_b32 s104, exec_lo, s104
	s_cbranch_execz .LBB0_3919
; %bb.3884:                             ;   in Loop: Header=BB0_7 Depth=1
	s_mov_b32 vcc_hi, exec_lo
	v_cmpx_ngt_f64_e32 s[16:17], v[8:9]
	s_xor_b32 vcc_hi, exec_lo, vcc_hi
	s_delay_alu instid0(SALU_CYCLE_1)
	v_writelane_b32 v18, vcc_hi, 0
	s_cbranch_execz .LBB0_3916
; %bb.3885:                             ;   in Loop: Header=BB0_7 Depth=1
	s_mov_b32 vcc_hi, exec_lo
	v_cmpx_ngt_f64_e32 s[50:51], v[8:9]
	s_xor_b32 vcc_hi, exec_lo, vcc_hi
	s_delay_alu instid0(SALU_CYCLE_1)
	v_writelane_b32 v18, vcc_hi, 1
	;; [unrolled: 7-line block ×8, first 2 shown]
	s_cbranch_execz .LBB0_3895
; %bb.3892:                             ;   in Loop: Header=BB0_7 Depth=1
	s_mov_b32 vcc_lo, exec_lo
	v_cmpx_gt_f64_e32 s[36:37], v[8:9]
; %bb.3893:                             ;   in Loop: Header=BB0_7 Depth=1
	v_add_nc_u32_e32 v11, 0x4000000, v11
; %bb.3894:                             ;   in Loop: Header=BB0_7 Depth=1
	s_or_b32 exec_lo, exec_lo, vcc_lo
.LBB0_3895:                             ;   in Loop: Header=BB0_7 Depth=1
	s_delay_alu instid0(VALU_DEP_1)
	v_readlane_b32 vcc_lo, v18, 8
	s_and_not1_saveexec_b32 vcc_lo, vcc_lo
; %bb.3896:                             ;   in Loop: Header=BB0_7 Depth=1
	v_add_nc_u32_e32 v11, 0x8000000, v11
; %bb.3897:                             ;   in Loop: Header=BB0_7 Depth=1
	s_or_b32 exec_lo, exec_lo, vcc_lo
.LBB0_3898:                             ;   in Loop: Header=BB0_7 Depth=1
	s_delay_alu instid0(VALU_DEP_1)
	v_readlane_b32 vcc_lo, v18, 6
	s_and_not1_saveexec_b32 vcc_lo, vcc_lo
; %bb.3899:                             ;   in Loop: Header=BB0_7 Depth=1
	v_add_nc_u32_e32 v11, 0xc000000, v11
; %bb.3900:                             ;   in Loop: Header=BB0_7 Depth=1
	s_or_b32 exec_lo, exec_lo, vcc_lo
.LBB0_3901:                             ;   in Loop: Header=BB0_7 Depth=1
	s_delay_alu instid0(VALU_DEP_1)
	v_readlane_b32 vcc_lo, v18, 5
	s_and_not1_saveexec_b32 vcc_lo, vcc_lo
; %bb.3902:                             ;   in Loop: Header=BB0_7 Depth=1
	v_add_nc_u32_e32 v11, 0x10000000, v11
; %bb.3903:                             ;   in Loop: Header=BB0_7 Depth=1
	s_or_b32 exec_lo, exec_lo, vcc_lo
.LBB0_3904:                             ;   in Loop: Header=BB0_7 Depth=1
	s_delay_alu instid0(VALU_DEP_1)
	v_readlane_b32 vcc_lo, v18, 4
	s_and_not1_saveexec_b32 vcc_lo, vcc_lo
; %bb.3905:                             ;   in Loop: Header=BB0_7 Depth=1
	v_add_nc_u32_e32 v11, 0x14000000, v11
; %bb.3906:                             ;   in Loop: Header=BB0_7 Depth=1
	s_or_b32 exec_lo, exec_lo, vcc_lo
.LBB0_3907:                             ;   in Loop: Header=BB0_7 Depth=1
	s_delay_alu instid0(VALU_DEP_1)
	v_readlane_b32 vcc_lo, v18, 3
	s_and_not1_saveexec_b32 vcc_lo, vcc_lo
; %bb.3908:                             ;   in Loop: Header=BB0_7 Depth=1
	v_add_nc_u32_e32 v11, 0x18000000, v11
; %bb.3909:                             ;   in Loop: Header=BB0_7 Depth=1
	s_or_b32 exec_lo, exec_lo, vcc_lo
.LBB0_3910:                             ;   in Loop: Header=BB0_7 Depth=1
	s_delay_alu instid0(VALU_DEP_1)
	v_readlane_b32 vcc_lo, v18, 2
	s_and_not1_saveexec_b32 vcc_lo, vcc_lo
; %bb.3911:                             ;   in Loop: Header=BB0_7 Depth=1
	v_add_nc_u32_e32 v11, 0x1c000000, v11
; %bb.3912:                             ;   in Loop: Header=BB0_7 Depth=1
	s_or_b32 exec_lo, exec_lo, vcc_lo
.LBB0_3913:                             ;   in Loop: Header=BB0_7 Depth=1
	s_delay_alu instid0(VALU_DEP_1)
	v_readlane_b32 vcc_lo, v18, 1
	s_and_not1_saveexec_b32 vcc_lo, vcc_lo
; %bb.3914:                             ;   in Loop: Header=BB0_7 Depth=1
	v_add_nc_u32_e32 v11, 0x20000000, v11
; %bb.3915:                             ;   in Loop: Header=BB0_7 Depth=1
	s_or_b32 exec_lo, exec_lo, vcc_lo
.LBB0_3916:                             ;   in Loop: Header=BB0_7 Depth=1
	s_delay_alu instid0(VALU_DEP_1)
	v_readlane_b32 vcc_lo, v18, 0
	s_and_not1_saveexec_b32 vcc_lo, vcc_lo
; %bb.3917:                             ;   in Loop: Header=BB0_7 Depth=1
	v_add_nc_u32_e32 v11, 0x24000000, v11
; %bb.3918:                             ;   in Loop: Header=BB0_7 Depth=1
	s_or_b32 exec_lo, exec_lo, vcc_lo
.LBB0_3919:                             ;   in Loop: Header=BB0_7 Depth=1
	s_and_not1_saveexec_b32 s104, s104
; %bb.3920:                             ;   in Loop: Header=BB0_7 Depth=1
	s_delay_alu instid0(VALU_DEP_1)
	v_add_nc_u32_e32 v11, 0x28000000, v11
; %bb.3921:                             ;   in Loop: Header=BB0_7 Depth=1
	s_or_b32 exec_lo, exec_lo, s104
.LBB0_3922:                             ;   in Loop: Header=BB0_7 Depth=1
	s_and_not1_saveexec_b32 s101, s101
; %bb.3923:                             ;   in Loop: Header=BB0_7 Depth=1
	s_delay_alu instid0(VALU_DEP_1)
	v_add_nc_u32_e32 v11, 0x2c000000, v11
; %bb.3924:                             ;   in Loop: Header=BB0_7 Depth=1
	s_or_b32 exec_lo, exec_lo, s101
.LBB0_3925:                             ;   in Loop: Header=BB0_7 Depth=1
	s_and_not1_saveexec_b32 s100, s100
; %bb.3926:                             ;   in Loop: Header=BB0_7 Depth=1
	s_delay_alu instid0(VALU_DEP_1)
	v_add_nc_u32_e32 v11, 0x30000000, v11
; %bb.3927:                             ;   in Loop: Header=BB0_7 Depth=1
	s_or_b32 exec_lo, exec_lo, s100
.LBB0_3928:                             ;   in Loop: Header=BB0_7 Depth=1
	s_and_not1_saveexec_b32 s99, s99
; %bb.3929:                             ;   in Loop: Header=BB0_7 Depth=1
	s_delay_alu instid0(VALU_DEP_1)
	v_add_nc_u32_e32 v11, 0x34000000, v11
; %bb.3930:                             ;   in Loop: Header=BB0_7 Depth=1
	s_or_b32 exec_lo, exec_lo, s99
.LBB0_3931:                             ;   in Loop: Header=BB0_7 Depth=1
	s_and_not1_saveexec_b32 s98, s98
; %bb.3932:                             ;   in Loop: Header=BB0_7 Depth=1
	s_delay_alu instid0(VALU_DEP_1)
	v_add_nc_u32_e32 v11, 0x38000000, v11
; %bb.3933:                             ;   in Loop: Header=BB0_7 Depth=1
	s_or_b32 exec_lo, exec_lo, s98
.LBB0_3934:                             ;   in Loop: Header=BB0_7 Depth=1
	s_and_not1_saveexec_b32 s97, s97
; %bb.3935:                             ;   in Loop: Header=BB0_7 Depth=1
	s_delay_alu instid0(VALU_DEP_1)
	v_add_nc_u32_e32 v11, 0x3c000000, v11
; %bb.3936:                             ;   in Loop: Header=BB0_7 Depth=1
	s_or_b32 exec_lo, exec_lo, s97
.LBB0_3937:                             ;   in Loop: Header=BB0_7 Depth=1
	s_and_not1_saveexec_b32 s96, s96
; %bb.3938:                             ;   in Loop: Header=BB0_7 Depth=1
	s_delay_alu instid0(VALU_DEP_1)
	v_add_nc_u32_e32 v11, 2.0, v11
; %bb.3939:                             ;   in Loop: Header=BB0_7 Depth=1
	s_or_b32 exec_lo, exec_lo, s96
.LBB0_3940:                             ;   in Loop: Header=BB0_7 Depth=1
	s_and_not1_saveexec_b32 s95, s95
; %bb.3941:                             ;   in Loop: Header=BB0_7 Depth=1
	s_delay_alu instid0(VALU_DEP_1)
	v_add_nc_u32_e32 v11, 0x44000000, v11
; %bb.3942:                             ;   in Loop: Header=BB0_7 Depth=1
	s_or_b32 exec_lo, exec_lo, s95
.LBB0_3943:                             ;   in Loop: Header=BB0_7 Depth=1
	s_and_not1_saveexec_b32 s94, s94
; %bb.3944:                             ;   in Loop: Header=BB0_7 Depth=1
	s_delay_alu instid0(VALU_DEP_1)
	v_add_nc_u32_e32 v11, 0x48000000, v11
; %bb.3945:                             ;   in Loop: Header=BB0_7 Depth=1
	s_or_b32 exec_lo, exec_lo, s94
.LBB0_3946:                             ;   in Loop: Header=BB0_7 Depth=1
	s_and_not1_saveexec_b32 s93, s93
; %bb.3947:                             ;   in Loop: Header=BB0_7 Depth=1
	s_delay_alu instid0(VALU_DEP_1)
	v_add_nc_u32_e32 v11, 0x4c000000, v11
; %bb.3948:                             ;   in Loop: Header=BB0_7 Depth=1
	s_or_b32 exec_lo, exec_lo, s93
.LBB0_3949:                             ;   in Loop: Header=BB0_7 Depth=1
	s_and_not1_saveexec_b32 s92, s92
; %bb.3950:                             ;   in Loop: Header=BB0_7 Depth=1
	s_delay_alu instid0(VALU_DEP_1)
	v_add_nc_u32_e32 v11, 0x50000000, v11
; %bb.3951:                             ;   in Loop: Header=BB0_7 Depth=1
	s_or_b32 exec_lo, exec_lo, s92
.LBB0_3952:                             ;   in Loop: Header=BB0_7 Depth=1
	s_and_not1_saveexec_b32 s91, s91
; %bb.3953:                             ;   in Loop: Header=BB0_7 Depth=1
	s_delay_alu instid0(VALU_DEP_1)
	v_add_nc_u32_e32 v11, 0x54000000, v11
; %bb.3954:                             ;   in Loop: Header=BB0_7 Depth=1
	s_or_b32 exec_lo, exec_lo, s91
.LBB0_3955:                             ;   in Loop: Header=BB0_7 Depth=1
	s_and_not1_saveexec_b32 s90, s90
; %bb.3956:                             ;   in Loop: Header=BB0_7 Depth=1
	s_delay_alu instid0(VALU_DEP_1)
	v_add_nc_u32_e32 v11, 0x58000000, v11
; %bb.3957:                             ;   in Loop: Header=BB0_7 Depth=1
	s_or_b32 exec_lo, exec_lo, s90
.LBB0_3958:                             ;   in Loop: Header=BB0_7 Depth=1
	s_and_not1_saveexec_b32 s89, s89
; %bb.3959:                             ;   in Loop: Header=BB0_7 Depth=1
	s_delay_alu instid0(VALU_DEP_1)
	v_add_nc_u32_e32 v11, 0x5c000000, v11
; %bb.3960:                             ;   in Loop: Header=BB0_7 Depth=1
	s_or_b32 exec_lo, exec_lo, s89
.LBB0_3961:                             ;   in Loop: Header=BB0_7 Depth=1
	s_and_not1_saveexec_b32 s88, s88
; %bb.3962:                             ;   in Loop: Header=BB0_7 Depth=1
	s_delay_alu instid0(VALU_DEP_1)
	v_add_nc_u32_e32 v11, 0x60000000, v11
; %bb.3963:                             ;   in Loop: Header=BB0_7 Depth=1
	s_or_b32 exec_lo, exec_lo, s88
.LBB0_3964:                             ;   in Loop: Header=BB0_7 Depth=1
	s_and_not1_saveexec_b32 s87, s87
; %bb.3965:                             ;   in Loop: Header=BB0_7 Depth=1
	s_delay_alu instid0(VALU_DEP_1)
	v_add_nc_u32_e32 v11, 0x64000000, v11
; %bb.3966:                             ;   in Loop: Header=BB0_7 Depth=1
	s_or_b32 exec_lo, exec_lo, s87
.LBB0_3967:                             ;   in Loop: Header=BB0_7 Depth=1
	s_and_not1_saveexec_b32 s86, s86
; %bb.3968:                             ;   in Loop: Header=BB0_7 Depth=1
	s_delay_alu instid0(VALU_DEP_1)
	v_add_nc_u32_e32 v11, 0x68000000, v11
; %bb.3969:                             ;   in Loop: Header=BB0_7 Depth=1
	s_or_b32 exec_lo, exec_lo, s86
.LBB0_3970:                             ;   in Loop: Header=BB0_7 Depth=1
	s_and_not1_saveexec_b32 s85, s85
; %bb.3971:                             ;   in Loop: Header=BB0_7 Depth=1
	s_delay_alu instid0(VALU_DEP_1)
	v_add_nc_u32_e32 v11, 0x6c000000, v11
; %bb.3972:                             ;   in Loop: Header=BB0_7 Depth=1
	s_or_b32 exec_lo, exec_lo, s85
.LBB0_3973:                             ;   in Loop: Header=BB0_7 Depth=1
	s_and_not1_saveexec_b32 s84, s84
; %bb.3974:                             ;   in Loop: Header=BB0_7 Depth=1
	s_delay_alu instid0(VALU_DEP_1)
	v_add_nc_u32_e32 v11, 0x70000000, v11
; %bb.3975:                             ;   in Loop: Header=BB0_7 Depth=1
	s_or_b32 exec_lo, exec_lo, s84
.LBB0_3976:                             ;   in Loop: Header=BB0_7 Depth=1
	s_and_not1_saveexec_b32 s83, s83
; %bb.3977:                             ;   in Loop: Header=BB0_7 Depth=1
	s_delay_alu instid0(VALU_DEP_1)
	v_add_nc_u32_e32 v11, 0x74000000, v11
; %bb.3978:                             ;   in Loop: Header=BB0_7 Depth=1
	s_or_b32 exec_lo, exec_lo, s83
.LBB0_3979:                             ;   in Loop: Header=BB0_7 Depth=1
	s_and_not1_saveexec_b32 s82, s82
; %bb.3980:                             ;   in Loop: Header=BB0_7 Depth=1
	s_delay_alu instid0(VALU_DEP_1)
	v_add_nc_u32_e32 v11, 0x78000000, v11
; %bb.3981:                             ;   in Loop: Header=BB0_7 Depth=1
	s_or_b32 exec_lo, exec_lo, s82
.LBB0_3982:                             ;   in Loop: Header=BB0_7 Depth=1
	s_and_not1_saveexec_b32 s81, s81
; %bb.3983:                             ;   in Loop: Header=BB0_7 Depth=1
	s_delay_alu instid0(VALU_DEP_1)
	v_add_nc_u32_e32 v11, 0x7c000000, v11
; %bb.3984:                             ;   in Loop: Header=BB0_7 Depth=1
	s_or_b32 exec_lo, exec_lo, s81
.LBB0_3985:                             ;   in Loop: Header=BB0_7 Depth=1
	s_delay_alu instid0(SALU_CYCLE_1)
	s_or_b32 exec_lo, exec_lo, s63
	v_lshl_add_u32 v8, s80, 12, v10
	v_mov_b32_e32 v1, 0x7c
	s_or_b32 s63, s33, 36
	s_mov_b32 s80, exec_lo
	global_store_b32 v8, v11, s[34:35] scale_offset
	s_wait_xcnt 0x0
	v_cmpx_lt_u32_e64 s63, v0
	s_cbranch_execz .LBB0_4049
; %bb.3986:                             ;   in Loop: Header=BB0_7 Depth=1
	s_add_co_i32 s81, s62, 0
	s_delay_alu instid0(SALU_CYCLE_1)
	v_mov_b32_e32 v1, s81
	s_mov_b32 s81, exec_lo
	ds_load_2addr_b64 v[12:15], v1 offset0:108 offset1:109
	ds_load_b64 v[16:17], v1 offset:880
	v_mov_b32_e32 v1, 0x7c
	s_wait_dscnt 0x1
	v_mul_f64_e32 v[8:9], v[4:5], v[14:15]
	s_delay_alu instid0(VALU_DEP_1) | instskip(SKIP_1) | instid1(VALU_DEP_1)
	v_fmac_f64_e32 v[8:9], v[2:3], v[12:13]
	s_wait_dscnt 0x0
	v_fmac_f64_e32 v[8:9], v[6:7], v[16:17]
	s_delay_alu instid0(VALU_DEP_1)
	v_cmpx_ngt_f64_e32 s[60:61], v[8:9]
	s_cbranch_execz .LBB0_4048
; %bb.3987:                             ;   in Loop: Header=BB0_7 Depth=1
	v_mov_b32_e32 v1, 0x78
	s_mov_b32 s82, exec_lo
	v_cmpx_ngt_f64_e32 s[66:67], v[8:9]
	s_cbranch_execz .LBB0_4047
; %bb.3988:                             ;   in Loop: Header=BB0_7 Depth=1
	v_mov_b32_e32 v1, 0x74
	s_mov_b32 s83, exec_lo
	;; [unrolled: 5-line block ×21, first 2 shown]
	v_cmpx_ngt_f64_e32 s[18:19], v[8:9]
	s_cbranch_execz .LBB0_4027
; %bb.4008:                             ;   in Loop: Header=BB0_7 Depth=1
	v_mov_b32_e32 v1, 36
	v_cmp_ngt_f64_e32 vcc_lo, s[16:17], v[8:9]
	s_mov_b32 vcc_hi, exec_lo
	s_delay_alu instid0(SALU_CYCLE_1)
	s_and_b32 vcc_lo, vcc_hi, vcc_lo
	v_writelane_b32 v18, vcc_hi, 0
	s_mov_b32 exec_lo, vcc_lo
	s_cbranch_execz .LBB0_4026
; %bb.4009:                             ;   in Loop: Header=BB0_7 Depth=1
	v_mov_b32_e32 v1, 32
	v_cmp_ngt_f64_e32 vcc_lo, s[50:51], v[8:9]
	s_mov_b32 vcc_hi, exec_lo
	s_delay_alu instid0(SALU_CYCLE_1)
	s_and_b32 vcc_lo, vcc_hi, vcc_lo
	v_writelane_b32 v18, vcc_hi, 1
	s_mov_b32 exec_lo, vcc_lo
	;; [unrolled: 9-line block ×8, first 2 shown]
	s_cbranch_execz .LBB0_4019
; %bb.4016:                             ;   in Loop: Header=BB0_7 Depth=1
	v_mov_b32_e32 v1, 0
	s_mov_b32 vcc_hi, exec_lo
	v_cmpx_gt_f64_e32 s[36:37], v[8:9]
; %bb.4017:                             ;   in Loop: Header=BB0_7 Depth=1
	v_mov_b32_e32 v1, 4
; %bb.4018:                             ;   in Loop: Header=BB0_7 Depth=1
	s_or_b32 exec_lo, exec_lo, vcc_hi
.LBB0_4019:                             ;   in Loop: Header=BB0_7 Depth=1
	s_delay_alu instid0(VALU_DEP_1)
	v_readlane_b32 vcc_lo, v18, 8
	s_or_b32 exec_lo, exec_lo, vcc_lo
.LBB0_4020:                             ;   in Loop: Header=BB0_7 Depth=1
	s_delay_alu instid0(VALU_DEP_1)
	v_readlane_b32 vcc_lo, v18, 6
	s_or_b32 exec_lo, exec_lo, vcc_lo
.LBB0_4021:                             ;   in Loop: Header=BB0_7 Depth=1
	s_delay_alu instid0(VALU_DEP_1)
	v_readlane_b32 vcc_lo, v18, 5
	s_or_b32 exec_lo, exec_lo, vcc_lo
.LBB0_4022:                             ;   in Loop: Header=BB0_7 Depth=1
	s_delay_alu instid0(VALU_DEP_1)
	v_readlane_b32 vcc_lo, v18, 4
	s_or_b32 exec_lo, exec_lo, vcc_lo
.LBB0_4023:                             ;   in Loop: Header=BB0_7 Depth=1
	s_delay_alu instid0(VALU_DEP_1)
	v_readlane_b32 vcc_lo, v18, 3
	s_or_b32 exec_lo, exec_lo, vcc_lo
.LBB0_4024:                             ;   in Loop: Header=BB0_7 Depth=1
	s_delay_alu instid0(VALU_DEP_1)
	v_readlane_b32 vcc_lo, v18, 2
	s_or_b32 exec_lo, exec_lo, vcc_lo
.LBB0_4025:                             ;   in Loop: Header=BB0_7 Depth=1
	s_delay_alu instid0(VALU_DEP_1)
	v_readlane_b32 vcc_lo, v18, 1
	s_or_b32 exec_lo, exec_lo, vcc_lo
.LBB0_4026:                             ;   in Loop: Header=BB0_7 Depth=1
	s_delay_alu instid0(VALU_DEP_1)
	v_readlane_b32 vcc_lo, v18, 0
	s_or_b32 exec_lo, exec_lo, vcc_lo
.LBB0_4027:                             ;   in Loop: Header=BB0_7 Depth=1
	s_delay_alu instid0(SALU_CYCLE_1)
	s_or_b32 exec_lo, exec_lo, s104
.LBB0_4028:                             ;   in Loop: Header=BB0_7 Depth=1
	s_delay_alu instid0(SALU_CYCLE_1)
	s_or_b32 exec_lo, exec_lo, s101
.LBB0_4029:                             ;   in Loop: Header=BB0_7 Depth=1
	s_delay_alu instid0(SALU_CYCLE_1)
	s_or_b32 exec_lo, exec_lo, s100
.LBB0_4030:                             ;   in Loop: Header=BB0_7 Depth=1
	s_delay_alu instid0(SALU_CYCLE_1)
	s_or_b32 exec_lo, exec_lo, s99
.LBB0_4031:                             ;   in Loop: Header=BB0_7 Depth=1
	s_delay_alu instid0(SALU_CYCLE_1)
	s_or_b32 exec_lo, exec_lo, s98
.LBB0_4032:                             ;   in Loop: Header=BB0_7 Depth=1
	s_delay_alu instid0(SALU_CYCLE_1)
	s_or_b32 exec_lo, exec_lo, s97
.LBB0_4033:                             ;   in Loop: Header=BB0_7 Depth=1
	s_delay_alu instid0(SALU_CYCLE_1)
	s_or_b32 exec_lo, exec_lo, s96
.LBB0_4034:                             ;   in Loop: Header=BB0_7 Depth=1
	s_delay_alu instid0(SALU_CYCLE_1)
	s_or_b32 exec_lo, exec_lo, s95
.LBB0_4035:                             ;   in Loop: Header=BB0_7 Depth=1
	s_delay_alu instid0(SALU_CYCLE_1)
	s_or_b32 exec_lo, exec_lo, s94
.LBB0_4036:                             ;   in Loop: Header=BB0_7 Depth=1
	s_delay_alu instid0(SALU_CYCLE_1)
	s_or_b32 exec_lo, exec_lo, s93
.LBB0_4037:                             ;   in Loop: Header=BB0_7 Depth=1
	s_delay_alu instid0(SALU_CYCLE_1)
	s_or_b32 exec_lo, exec_lo, s92
.LBB0_4038:                             ;   in Loop: Header=BB0_7 Depth=1
	s_delay_alu instid0(SALU_CYCLE_1)
	s_or_b32 exec_lo, exec_lo, s91
.LBB0_4039:                             ;   in Loop: Header=BB0_7 Depth=1
	s_delay_alu instid0(SALU_CYCLE_1)
	s_or_b32 exec_lo, exec_lo, s90
.LBB0_4040:                             ;   in Loop: Header=BB0_7 Depth=1
	s_delay_alu instid0(SALU_CYCLE_1)
	s_or_b32 exec_lo, exec_lo, s89
.LBB0_4041:                             ;   in Loop: Header=BB0_7 Depth=1
	s_delay_alu instid0(SALU_CYCLE_1)
	s_or_b32 exec_lo, exec_lo, s88
.LBB0_4042:                             ;   in Loop: Header=BB0_7 Depth=1
	s_delay_alu instid0(SALU_CYCLE_1)
	s_or_b32 exec_lo, exec_lo, s87
.LBB0_4043:                             ;   in Loop: Header=BB0_7 Depth=1
	s_delay_alu instid0(SALU_CYCLE_1)
	s_or_b32 exec_lo, exec_lo, s86
.LBB0_4044:                             ;   in Loop: Header=BB0_7 Depth=1
	s_delay_alu instid0(SALU_CYCLE_1)
	s_or_b32 exec_lo, exec_lo, s85
.LBB0_4045:                             ;   in Loop: Header=BB0_7 Depth=1
	s_delay_alu instid0(SALU_CYCLE_1)
	s_or_b32 exec_lo, exec_lo, s84
.LBB0_4046:                             ;   in Loop: Header=BB0_7 Depth=1
	s_delay_alu instid0(SALU_CYCLE_1)
	s_or_b32 exec_lo, exec_lo, s83
.LBB0_4047:                             ;   in Loop: Header=BB0_7 Depth=1
	s_delay_alu instid0(SALU_CYCLE_1)
	s_or_b32 exec_lo, exec_lo, s82
.LBB0_4048:                             ;   in Loop: Header=BB0_7 Depth=1
	s_delay_alu instid0(SALU_CYCLE_1)
	s_or_b32 exec_lo, exec_lo, s81
.LBB0_4049:                             ;   in Loop: Header=BB0_7 Depth=1
	s_delay_alu instid0(SALU_CYCLE_1) | instskip(SKIP_1) | instid1(SALU_CYCLE_1)
	s_or_b32 exec_lo, exec_lo, s80
	s_or_b32 s80, s33, 37
	v_cmp_ge_u32_e32 vcc_lo, s80, v0
	s_and_saveexec_b32 s80, vcc_lo
	s_delay_alu instid0(SALU_CYCLE_1)
	s_xor_b32 s80, exec_lo, s80
; %bb.4050:                             ;   in Loop: Header=BB0_7 Depth=1
	v_or_b32_e32 v1, 0x7c00, v1
; %bb.4051:                             ;   in Loop: Header=BB0_7 Depth=1
	s_and_not1_saveexec_b32 s80, s80
	s_cbranch_execz .LBB0_4175
; %bb.4052:                             ;   in Loop: Header=BB0_7 Depth=1
	s_add_co_i32 s81, s62, 0
	s_delay_alu instid0(SALU_CYCLE_1)
	v_mov_b32_e32 v8, s81
	s_mov_b32 s81, exec_lo
	ds_load_2addr_b64 v[12:15], v8 offset0:111 offset1:112
	ds_load_b64 v[16:17], v8 offset:904
	s_wait_dscnt 0x1
	v_mul_f64_e32 v[8:9], v[4:5], v[14:15]
	s_delay_alu instid0(VALU_DEP_1) | instskip(SKIP_1) | instid1(VALU_DEP_1)
	v_fmac_f64_e32 v[8:9], v[2:3], v[12:13]
	s_wait_dscnt 0x0
	v_fmac_f64_e32 v[8:9], v[6:7], v[16:17]
	s_delay_alu instid0(VALU_DEP_1)
	v_cmpx_ngt_f64_e32 s[60:61], v[8:9]
	s_xor_b32 s81, exec_lo, s81
	s_cbranch_execz .LBB0_4172
; %bb.4053:                             ;   in Loop: Header=BB0_7 Depth=1
	s_mov_b32 s82, exec_lo
	v_cmpx_ngt_f64_e32 s[66:67], v[8:9]
	s_xor_b32 s82, exec_lo, s82
	s_cbranch_execz .LBB0_4169
; %bb.4054:                             ;   in Loop: Header=BB0_7 Depth=1
	s_mov_b32 s83, exec_lo
	;; [unrolled: 5-line block ×21, first 2 shown]
	v_cmpx_ngt_f64_e32 s[18:19], v[8:9]
	s_xor_b32 s104, exec_lo, s104
	s_cbranch_execz .LBB0_4109
; %bb.4074:                             ;   in Loop: Header=BB0_7 Depth=1
	s_mov_b32 vcc_hi, exec_lo
	v_cmpx_ngt_f64_e32 s[16:17], v[8:9]
	s_xor_b32 vcc_hi, exec_lo, vcc_hi
	s_delay_alu instid0(SALU_CYCLE_1)
	v_writelane_b32 v18, vcc_hi, 0
	s_cbranch_execz .LBB0_4106
; %bb.4075:                             ;   in Loop: Header=BB0_7 Depth=1
	s_mov_b32 vcc_hi, exec_lo
	v_cmpx_ngt_f64_e32 s[50:51], v[8:9]
	s_xor_b32 vcc_hi, exec_lo, vcc_hi
	s_delay_alu instid0(SALU_CYCLE_1)
	v_writelane_b32 v18, vcc_hi, 1
	;; [unrolled: 7-line block ×8, first 2 shown]
	s_cbranch_execz .LBB0_4085
; %bb.4082:                             ;   in Loop: Header=BB0_7 Depth=1
	s_mov_b32 vcc_lo, exec_lo
	v_cmpx_gt_f64_e32 s[36:37], v[8:9]
; %bb.4083:                             ;   in Loop: Header=BB0_7 Depth=1
	v_or_b32_e32 v1, 0x400, v1
; %bb.4084:                             ;   in Loop: Header=BB0_7 Depth=1
	s_or_b32 exec_lo, exec_lo, vcc_lo
.LBB0_4085:                             ;   in Loop: Header=BB0_7 Depth=1
	s_delay_alu instid0(VALU_DEP_1)
	v_readlane_b32 vcc_lo, v18, 8
	s_and_not1_saveexec_b32 vcc_lo, vcc_lo
; %bb.4086:                             ;   in Loop: Header=BB0_7 Depth=1
	v_or_b32_e32 v1, 0x800, v1
; %bb.4087:                             ;   in Loop: Header=BB0_7 Depth=1
	s_or_b32 exec_lo, exec_lo, vcc_lo
.LBB0_4088:                             ;   in Loop: Header=BB0_7 Depth=1
	s_delay_alu instid0(VALU_DEP_1)
	v_readlane_b32 vcc_lo, v18, 6
	s_and_not1_saveexec_b32 vcc_lo, vcc_lo
; %bb.4089:                             ;   in Loop: Header=BB0_7 Depth=1
	v_or_b32_e32 v1, 0xc00, v1
; %bb.4090:                             ;   in Loop: Header=BB0_7 Depth=1
	s_or_b32 exec_lo, exec_lo, vcc_lo
.LBB0_4091:                             ;   in Loop: Header=BB0_7 Depth=1
	s_delay_alu instid0(VALU_DEP_1)
	v_readlane_b32 vcc_lo, v18, 5
	s_and_not1_saveexec_b32 vcc_lo, vcc_lo
; %bb.4092:                             ;   in Loop: Header=BB0_7 Depth=1
	v_or_b32_e32 v1, 0x1000, v1
; %bb.4093:                             ;   in Loop: Header=BB0_7 Depth=1
	s_or_b32 exec_lo, exec_lo, vcc_lo
.LBB0_4094:                             ;   in Loop: Header=BB0_7 Depth=1
	s_delay_alu instid0(VALU_DEP_1)
	v_readlane_b32 vcc_lo, v18, 4
	s_and_not1_saveexec_b32 vcc_lo, vcc_lo
; %bb.4095:                             ;   in Loop: Header=BB0_7 Depth=1
	v_or_b32_e32 v1, 0x1400, v1
; %bb.4096:                             ;   in Loop: Header=BB0_7 Depth=1
	s_or_b32 exec_lo, exec_lo, vcc_lo
.LBB0_4097:                             ;   in Loop: Header=BB0_7 Depth=1
	s_delay_alu instid0(VALU_DEP_1)
	v_readlane_b32 vcc_lo, v18, 3
	s_and_not1_saveexec_b32 vcc_lo, vcc_lo
; %bb.4098:                             ;   in Loop: Header=BB0_7 Depth=1
	v_or_b32_e32 v1, 0x1800, v1
; %bb.4099:                             ;   in Loop: Header=BB0_7 Depth=1
	s_or_b32 exec_lo, exec_lo, vcc_lo
.LBB0_4100:                             ;   in Loop: Header=BB0_7 Depth=1
	s_delay_alu instid0(VALU_DEP_1)
	v_readlane_b32 vcc_lo, v18, 2
	s_and_not1_saveexec_b32 vcc_lo, vcc_lo
; %bb.4101:                             ;   in Loop: Header=BB0_7 Depth=1
	v_or_b32_e32 v1, 0x1c00, v1
; %bb.4102:                             ;   in Loop: Header=BB0_7 Depth=1
	s_or_b32 exec_lo, exec_lo, vcc_lo
.LBB0_4103:                             ;   in Loop: Header=BB0_7 Depth=1
	s_delay_alu instid0(VALU_DEP_1)
	v_readlane_b32 vcc_lo, v18, 1
	s_and_not1_saveexec_b32 vcc_lo, vcc_lo
; %bb.4104:                             ;   in Loop: Header=BB0_7 Depth=1
	v_or_b32_e32 v1, 0x2000, v1
; %bb.4105:                             ;   in Loop: Header=BB0_7 Depth=1
	s_or_b32 exec_lo, exec_lo, vcc_lo
.LBB0_4106:                             ;   in Loop: Header=BB0_7 Depth=1
	s_delay_alu instid0(VALU_DEP_1)
	v_readlane_b32 vcc_lo, v18, 0
	s_and_not1_saveexec_b32 vcc_lo, vcc_lo
; %bb.4107:                             ;   in Loop: Header=BB0_7 Depth=1
	v_or_b32_e32 v1, 0x2400, v1
; %bb.4108:                             ;   in Loop: Header=BB0_7 Depth=1
	s_or_b32 exec_lo, exec_lo, vcc_lo
.LBB0_4109:                             ;   in Loop: Header=BB0_7 Depth=1
	s_and_not1_saveexec_b32 s104, s104
; %bb.4110:                             ;   in Loop: Header=BB0_7 Depth=1
	s_delay_alu instid0(VALU_DEP_1)
	v_or_b32_e32 v1, 0x2800, v1
; %bb.4111:                             ;   in Loop: Header=BB0_7 Depth=1
	s_or_b32 exec_lo, exec_lo, s104
.LBB0_4112:                             ;   in Loop: Header=BB0_7 Depth=1
	s_and_not1_saveexec_b32 s101, s101
; %bb.4113:                             ;   in Loop: Header=BB0_7 Depth=1
	s_delay_alu instid0(VALU_DEP_1)
	v_or_b32_e32 v1, 0x2c00, v1
; %bb.4114:                             ;   in Loop: Header=BB0_7 Depth=1
	s_or_b32 exec_lo, exec_lo, s101
.LBB0_4115:                             ;   in Loop: Header=BB0_7 Depth=1
	s_and_not1_saveexec_b32 s100, s100
; %bb.4116:                             ;   in Loop: Header=BB0_7 Depth=1
	s_delay_alu instid0(VALU_DEP_1)
	v_or_b32_e32 v1, 0x3000, v1
; %bb.4117:                             ;   in Loop: Header=BB0_7 Depth=1
	s_or_b32 exec_lo, exec_lo, s100
.LBB0_4118:                             ;   in Loop: Header=BB0_7 Depth=1
	s_and_not1_saveexec_b32 s99, s99
; %bb.4119:                             ;   in Loop: Header=BB0_7 Depth=1
	s_delay_alu instid0(VALU_DEP_1)
	v_or_b32_e32 v1, 0x3400, v1
; %bb.4120:                             ;   in Loop: Header=BB0_7 Depth=1
	s_or_b32 exec_lo, exec_lo, s99
.LBB0_4121:                             ;   in Loop: Header=BB0_7 Depth=1
	s_and_not1_saveexec_b32 s98, s98
; %bb.4122:                             ;   in Loop: Header=BB0_7 Depth=1
	s_delay_alu instid0(VALU_DEP_1)
	v_or_b32_e32 v1, 0x3800, v1
; %bb.4123:                             ;   in Loop: Header=BB0_7 Depth=1
	s_or_b32 exec_lo, exec_lo, s98
.LBB0_4124:                             ;   in Loop: Header=BB0_7 Depth=1
	s_and_not1_saveexec_b32 s97, s97
; %bb.4125:                             ;   in Loop: Header=BB0_7 Depth=1
	s_delay_alu instid0(VALU_DEP_1)
	v_or_b32_e32 v1, 0x3c00, v1
; %bb.4126:                             ;   in Loop: Header=BB0_7 Depth=1
	s_or_b32 exec_lo, exec_lo, s97
.LBB0_4127:                             ;   in Loop: Header=BB0_7 Depth=1
	s_and_not1_saveexec_b32 s96, s96
; %bb.4128:                             ;   in Loop: Header=BB0_7 Depth=1
	s_delay_alu instid0(VALU_DEP_1)
	v_or_b32_e32 v1, 0x4000, v1
; %bb.4129:                             ;   in Loop: Header=BB0_7 Depth=1
	s_or_b32 exec_lo, exec_lo, s96
.LBB0_4130:                             ;   in Loop: Header=BB0_7 Depth=1
	s_and_not1_saveexec_b32 s95, s95
; %bb.4131:                             ;   in Loop: Header=BB0_7 Depth=1
	s_delay_alu instid0(VALU_DEP_1)
	v_or_b32_e32 v1, 0x4400, v1
; %bb.4132:                             ;   in Loop: Header=BB0_7 Depth=1
	s_or_b32 exec_lo, exec_lo, s95
.LBB0_4133:                             ;   in Loop: Header=BB0_7 Depth=1
	s_and_not1_saveexec_b32 s94, s94
; %bb.4134:                             ;   in Loop: Header=BB0_7 Depth=1
	s_delay_alu instid0(VALU_DEP_1)
	v_or_b32_e32 v1, 0x4800, v1
; %bb.4135:                             ;   in Loop: Header=BB0_7 Depth=1
	s_or_b32 exec_lo, exec_lo, s94
.LBB0_4136:                             ;   in Loop: Header=BB0_7 Depth=1
	s_and_not1_saveexec_b32 s93, s93
; %bb.4137:                             ;   in Loop: Header=BB0_7 Depth=1
	s_delay_alu instid0(VALU_DEP_1)
	v_or_b32_e32 v1, 0x4c00, v1
; %bb.4138:                             ;   in Loop: Header=BB0_7 Depth=1
	s_or_b32 exec_lo, exec_lo, s93
.LBB0_4139:                             ;   in Loop: Header=BB0_7 Depth=1
	s_and_not1_saveexec_b32 s92, s92
; %bb.4140:                             ;   in Loop: Header=BB0_7 Depth=1
	s_delay_alu instid0(VALU_DEP_1)
	v_or_b32_e32 v1, 0x5000, v1
; %bb.4141:                             ;   in Loop: Header=BB0_7 Depth=1
	s_or_b32 exec_lo, exec_lo, s92
.LBB0_4142:                             ;   in Loop: Header=BB0_7 Depth=1
	s_and_not1_saveexec_b32 s91, s91
; %bb.4143:                             ;   in Loop: Header=BB0_7 Depth=1
	s_delay_alu instid0(VALU_DEP_1)
	v_or_b32_e32 v1, 0x5400, v1
; %bb.4144:                             ;   in Loop: Header=BB0_7 Depth=1
	s_or_b32 exec_lo, exec_lo, s91
.LBB0_4145:                             ;   in Loop: Header=BB0_7 Depth=1
	s_and_not1_saveexec_b32 s90, s90
; %bb.4146:                             ;   in Loop: Header=BB0_7 Depth=1
	s_delay_alu instid0(VALU_DEP_1)
	v_or_b32_e32 v1, 0x5800, v1
; %bb.4147:                             ;   in Loop: Header=BB0_7 Depth=1
	s_or_b32 exec_lo, exec_lo, s90
.LBB0_4148:                             ;   in Loop: Header=BB0_7 Depth=1
	s_and_not1_saveexec_b32 s89, s89
; %bb.4149:                             ;   in Loop: Header=BB0_7 Depth=1
	s_delay_alu instid0(VALU_DEP_1)
	v_or_b32_e32 v1, 0x5c00, v1
; %bb.4150:                             ;   in Loop: Header=BB0_7 Depth=1
	s_or_b32 exec_lo, exec_lo, s89
.LBB0_4151:                             ;   in Loop: Header=BB0_7 Depth=1
	s_and_not1_saveexec_b32 s88, s88
; %bb.4152:                             ;   in Loop: Header=BB0_7 Depth=1
	s_delay_alu instid0(VALU_DEP_1)
	v_or_b32_e32 v1, 0x6000, v1
; %bb.4153:                             ;   in Loop: Header=BB0_7 Depth=1
	s_or_b32 exec_lo, exec_lo, s88
.LBB0_4154:                             ;   in Loop: Header=BB0_7 Depth=1
	s_and_not1_saveexec_b32 s87, s87
; %bb.4155:                             ;   in Loop: Header=BB0_7 Depth=1
	s_delay_alu instid0(VALU_DEP_1)
	v_or_b32_e32 v1, 0x6400, v1
; %bb.4156:                             ;   in Loop: Header=BB0_7 Depth=1
	s_or_b32 exec_lo, exec_lo, s87
.LBB0_4157:                             ;   in Loop: Header=BB0_7 Depth=1
	s_and_not1_saveexec_b32 s86, s86
; %bb.4158:                             ;   in Loop: Header=BB0_7 Depth=1
	s_delay_alu instid0(VALU_DEP_1)
	v_or_b32_e32 v1, 0x6800, v1
; %bb.4159:                             ;   in Loop: Header=BB0_7 Depth=1
	s_or_b32 exec_lo, exec_lo, s86
.LBB0_4160:                             ;   in Loop: Header=BB0_7 Depth=1
	s_and_not1_saveexec_b32 s85, s85
; %bb.4161:                             ;   in Loop: Header=BB0_7 Depth=1
	s_delay_alu instid0(VALU_DEP_1)
	v_or_b32_e32 v1, 0x6c00, v1
; %bb.4162:                             ;   in Loop: Header=BB0_7 Depth=1
	s_or_b32 exec_lo, exec_lo, s85
.LBB0_4163:                             ;   in Loop: Header=BB0_7 Depth=1
	s_and_not1_saveexec_b32 s84, s84
; %bb.4164:                             ;   in Loop: Header=BB0_7 Depth=1
	s_delay_alu instid0(VALU_DEP_1)
	v_or_b32_e32 v1, 0x7000, v1
; %bb.4165:                             ;   in Loop: Header=BB0_7 Depth=1
	s_or_b32 exec_lo, exec_lo, s84
.LBB0_4166:                             ;   in Loop: Header=BB0_7 Depth=1
	s_and_not1_saveexec_b32 s83, s83
; %bb.4167:                             ;   in Loop: Header=BB0_7 Depth=1
	s_delay_alu instid0(VALU_DEP_1)
	v_or_b32_e32 v1, 0x7400, v1
; %bb.4168:                             ;   in Loop: Header=BB0_7 Depth=1
	s_or_b32 exec_lo, exec_lo, s83
.LBB0_4169:                             ;   in Loop: Header=BB0_7 Depth=1
	s_and_not1_saveexec_b32 s82, s82
; %bb.4170:                             ;   in Loop: Header=BB0_7 Depth=1
	s_delay_alu instid0(VALU_DEP_1)
	v_or_b32_e32 v1, 0x7800, v1
; %bb.4171:                             ;   in Loop: Header=BB0_7 Depth=1
	s_or_b32 exec_lo, exec_lo, s82
.LBB0_4172:                             ;   in Loop: Header=BB0_7 Depth=1
	s_and_not1_saveexec_b32 s81, s81
; %bb.4173:                             ;   in Loop: Header=BB0_7 Depth=1
	s_delay_alu instid0(VALU_DEP_1)
	v_or_b32_e32 v1, 0x7c00, v1
; %bb.4174:                             ;   in Loop: Header=BB0_7 Depth=1
	s_or_b32 exec_lo, exec_lo, s81
.LBB0_4175:                             ;   in Loop: Header=BB0_7 Depth=1
	s_delay_alu instid0(SALU_CYCLE_1) | instskip(SKIP_1) | instid1(SALU_CYCLE_1)
	s_or_b32 exec_lo, exec_lo, s80
	s_or_b32 s80, s33, 38
	v_cmp_ge_u32_e32 vcc_lo, s80, v0
	s_and_saveexec_b32 s80, vcc_lo
	s_delay_alu instid0(SALU_CYCLE_1)
	s_xor_b32 s80, exec_lo, s80
; %bb.4176:                             ;   in Loop: Header=BB0_7 Depth=1
	v_add_nc_u32_e32 v1, 0x7c0000, v1
; %bb.4177:                             ;   in Loop: Header=BB0_7 Depth=1
	s_and_not1_saveexec_b32 s80, s80
	s_cbranch_execz .LBB0_4301
; %bb.4178:                             ;   in Loop: Header=BB0_7 Depth=1
	s_add_co_i32 s81, s62, 0
	s_delay_alu instid0(SALU_CYCLE_1)
	v_mov_b32_e32 v8, s81
	s_mov_b32 s81, exec_lo
	ds_load_2addr_b64 v[12:15], v8 offset0:114 offset1:115
	ds_load_b64 v[16:17], v8 offset:928
	s_wait_dscnt 0x1
	v_mul_f64_e32 v[8:9], v[4:5], v[14:15]
	s_delay_alu instid0(VALU_DEP_1) | instskip(SKIP_1) | instid1(VALU_DEP_1)
	v_fmac_f64_e32 v[8:9], v[2:3], v[12:13]
	s_wait_dscnt 0x0
	v_fmac_f64_e32 v[8:9], v[6:7], v[16:17]
	s_delay_alu instid0(VALU_DEP_1)
	v_cmpx_ngt_f64_e32 s[60:61], v[8:9]
	s_xor_b32 s81, exec_lo, s81
	s_cbranch_execz .LBB0_4298
; %bb.4179:                             ;   in Loop: Header=BB0_7 Depth=1
	s_mov_b32 s82, exec_lo
	v_cmpx_ngt_f64_e32 s[66:67], v[8:9]
	s_xor_b32 s82, exec_lo, s82
	s_cbranch_execz .LBB0_4295
; %bb.4180:                             ;   in Loop: Header=BB0_7 Depth=1
	s_mov_b32 s83, exec_lo
	;; [unrolled: 5-line block ×21, first 2 shown]
	v_cmpx_ngt_f64_e32 s[18:19], v[8:9]
	s_xor_b32 s104, exec_lo, s104
	s_cbranch_execz .LBB0_4235
; %bb.4200:                             ;   in Loop: Header=BB0_7 Depth=1
	s_mov_b32 vcc_hi, exec_lo
	v_cmpx_ngt_f64_e32 s[16:17], v[8:9]
	s_xor_b32 vcc_hi, exec_lo, vcc_hi
	s_delay_alu instid0(SALU_CYCLE_1)
	v_writelane_b32 v18, vcc_hi, 0
	s_cbranch_execz .LBB0_4232
; %bb.4201:                             ;   in Loop: Header=BB0_7 Depth=1
	s_mov_b32 vcc_hi, exec_lo
	v_cmpx_ngt_f64_e32 s[50:51], v[8:9]
	s_xor_b32 vcc_hi, exec_lo, vcc_hi
	s_delay_alu instid0(SALU_CYCLE_1)
	v_writelane_b32 v18, vcc_hi, 1
	;; [unrolled: 7-line block ×8, first 2 shown]
	s_cbranch_execz .LBB0_4211
; %bb.4208:                             ;   in Loop: Header=BB0_7 Depth=1
	s_mov_b32 vcc_lo, exec_lo
	v_cmpx_gt_f64_e32 s[36:37], v[8:9]
; %bb.4209:                             ;   in Loop: Header=BB0_7 Depth=1
	v_add_nc_u32_e32 v1, 0x40000, v1
; %bb.4210:                             ;   in Loop: Header=BB0_7 Depth=1
	s_or_b32 exec_lo, exec_lo, vcc_lo
.LBB0_4211:                             ;   in Loop: Header=BB0_7 Depth=1
	s_delay_alu instid0(VALU_DEP_1)
	v_readlane_b32 vcc_lo, v18, 8
	s_and_not1_saveexec_b32 vcc_lo, vcc_lo
; %bb.4212:                             ;   in Loop: Header=BB0_7 Depth=1
	v_add_nc_u32_e32 v1, 0x80000, v1
; %bb.4213:                             ;   in Loop: Header=BB0_7 Depth=1
	s_or_b32 exec_lo, exec_lo, vcc_lo
.LBB0_4214:                             ;   in Loop: Header=BB0_7 Depth=1
	s_delay_alu instid0(VALU_DEP_1)
	v_readlane_b32 vcc_lo, v18, 6
	s_and_not1_saveexec_b32 vcc_lo, vcc_lo
; %bb.4215:                             ;   in Loop: Header=BB0_7 Depth=1
	v_add_nc_u32_e32 v1, 0xc0000, v1
; %bb.4216:                             ;   in Loop: Header=BB0_7 Depth=1
	s_or_b32 exec_lo, exec_lo, vcc_lo
.LBB0_4217:                             ;   in Loop: Header=BB0_7 Depth=1
	s_delay_alu instid0(VALU_DEP_1)
	v_readlane_b32 vcc_lo, v18, 5
	s_and_not1_saveexec_b32 vcc_lo, vcc_lo
; %bb.4218:                             ;   in Loop: Header=BB0_7 Depth=1
	v_add_nc_u32_e32 v1, 0x100000, v1
; %bb.4219:                             ;   in Loop: Header=BB0_7 Depth=1
	s_or_b32 exec_lo, exec_lo, vcc_lo
.LBB0_4220:                             ;   in Loop: Header=BB0_7 Depth=1
	s_delay_alu instid0(VALU_DEP_1)
	v_readlane_b32 vcc_lo, v18, 4
	s_and_not1_saveexec_b32 vcc_lo, vcc_lo
; %bb.4221:                             ;   in Loop: Header=BB0_7 Depth=1
	v_add_nc_u32_e32 v1, 0x140000, v1
; %bb.4222:                             ;   in Loop: Header=BB0_7 Depth=1
	s_or_b32 exec_lo, exec_lo, vcc_lo
.LBB0_4223:                             ;   in Loop: Header=BB0_7 Depth=1
	s_delay_alu instid0(VALU_DEP_1)
	v_readlane_b32 vcc_lo, v18, 3
	s_and_not1_saveexec_b32 vcc_lo, vcc_lo
; %bb.4224:                             ;   in Loop: Header=BB0_7 Depth=1
	v_add_nc_u32_e32 v1, 0x180000, v1
; %bb.4225:                             ;   in Loop: Header=BB0_7 Depth=1
	s_or_b32 exec_lo, exec_lo, vcc_lo
.LBB0_4226:                             ;   in Loop: Header=BB0_7 Depth=1
	s_delay_alu instid0(VALU_DEP_1)
	v_readlane_b32 vcc_lo, v18, 2
	s_and_not1_saveexec_b32 vcc_lo, vcc_lo
; %bb.4227:                             ;   in Loop: Header=BB0_7 Depth=1
	v_add_nc_u32_e32 v1, 0x1c0000, v1
; %bb.4228:                             ;   in Loop: Header=BB0_7 Depth=1
	s_or_b32 exec_lo, exec_lo, vcc_lo
.LBB0_4229:                             ;   in Loop: Header=BB0_7 Depth=1
	s_delay_alu instid0(VALU_DEP_1)
	v_readlane_b32 vcc_lo, v18, 1
	s_and_not1_saveexec_b32 vcc_lo, vcc_lo
; %bb.4230:                             ;   in Loop: Header=BB0_7 Depth=1
	v_add_nc_u32_e32 v1, 0x200000, v1
; %bb.4231:                             ;   in Loop: Header=BB0_7 Depth=1
	s_or_b32 exec_lo, exec_lo, vcc_lo
.LBB0_4232:                             ;   in Loop: Header=BB0_7 Depth=1
	s_delay_alu instid0(VALU_DEP_1)
	v_readlane_b32 vcc_lo, v18, 0
	s_and_not1_saveexec_b32 vcc_lo, vcc_lo
; %bb.4233:                             ;   in Loop: Header=BB0_7 Depth=1
	v_add_nc_u32_e32 v1, 0x240000, v1
; %bb.4234:                             ;   in Loop: Header=BB0_7 Depth=1
	s_or_b32 exec_lo, exec_lo, vcc_lo
.LBB0_4235:                             ;   in Loop: Header=BB0_7 Depth=1
	s_and_not1_saveexec_b32 s104, s104
; %bb.4236:                             ;   in Loop: Header=BB0_7 Depth=1
	s_delay_alu instid0(VALU_DEP_1)
	v_add_nc_u32_e32 v1, 0x280000, v1
; %bb.4237:                             ;   in Loop: Header=BB0_7 Depth=1
	s_or_b32 exec_lo, exec_lo, s104
.LBB0_4238:                             ;   in Loop: Header=BB0_7 Depth=1
	s_and_not1_saveexec_b32 s101, s101
; %bb.4239:                             ;   in Loop: Header=BB0_7 Depth=1
	s_delay_alu instid0(VALU_DEP_1)
	v_add_nc_u32_e32 v1, 0x2c0000, v1
; %bb.4240:                             ;   in Loop: Header=BB0_7 Depth=1
	s_or_b32 exec_lo, exec_lo, s101
.LBB0_4241:                             ;   in Loop: Header=BB0_7 Depth=1
	s_and_not1_saveexec_b32 s100, s100
; %bb.4242:                             ;   in Loop: Header=BB0_7 Depth=1
	s_delay_alu instid0(VALU_DEP_1)
	v_add_nc_u32_e32 v1, 0x300000, v1
; %bb.4243:                             ;   in Loop: Header=BB0_7 Depth=1
	s_or_b32 exec_lo, exec_lo, s100
.LBB0_4244:                             ;   in Loop: Header=BB0_7 Depth=1
	s_and_not1_saveexec_b32 s99, s99
; %bb.4245:                             ;   in Loop: Header=BB0_7 Depth=1
	s_delay_alu instid0(VALU_DEP_1)
	v_add_nc_u32_e32 v1, 0x340000, v1
; %bb.4246:                             ;   in Loop: Header=BB0_7 Depth=1
	s_or_b32 exec_lo, exec_lo, s99
.LBB0_4247:                             ;   in Loop: Header=BB0_7 Depth=1
	s_and_not1_saveexec_b32 s98, s98
; %bb.4248:                             ;   in Loop: Header=BB0_7 Depth=1
	s_delay_alu instid0(VALU_DEP_1)
	v_add_nc_u32_e32 v1, 0x380000, v1
; %bb.4249:                             ;   in Loop: Header=BB0_7 Depth=1
	s_or_b32 exec_lo, exec_lo, s98
.LBB0_4250:                             ;   in Loop: Header=BB0_7 Depth=1
	s_and_not1_saveexec_b32 s97, s97
; %bb.4251:                             ;   in Loop: Header=BB0_7 Depth=1
	s_delay_alu instid0(VALU_DEP_1)
	v_add_nc_u32_e32 v1, 0x3c0000, v1
; %bb.4252:                             ;   in Loop: Header=BB0_7 Depth=1
	s_or_b32 exec_lo, exec_lo, s97
.LBB0_4253:                             ;   in Loop: Header=BB0_7 Depth=1
	s_and_not1_saveexec_b32 s96, s96
; %bb.4254:                             ;   in Loop: Header=BB0_7 Depth=1
	s_delay_alu instid0(VALU_DEP_1)
	v_add_nc_u32_e32 v1, 0x400000, v1
; %bb.4255:                             ;   in Loop: Header=BB0_7 Depth=1
	s_or_b32 exec_lo, exec_lo, s96
.LBB0_4256:                             ;   in Loop: Header=BB0_7 Depth=1
	s_and_not1_saveexec_b32 s95, s95
; %bb.4257:                             ;   in Loop: Header=BB0_7 Depth=1
	s_delay_alu instid0(VALU_DEP_1)
	v_add_nc_u32_e32 v1, 0x440000, v1
; %bb.4258:                             ;   in Loop: Header=BB0_7 Depth=1
	s_or_b32 exec_lo, exec_lo, s95
.LBB0_4259:                             ;   in Loop: Header=BB0_7 Depth=1
	s_and_not1_saveexec_b32 s94, s94
; %bb.4260:                             ;   in Loop: Header=BB0_7 Depth=1
	s_delay_alu instid0(VALU_DEP_1)
	v_add_nc_u32_e32 v1, 0x480000, v1
; %bb.4261:                             ;   in Loop: Header=BB0_7 Depth=1
	s_or_b32 exec_lo, exec_lo, s94
.LBB0_4262:                             ;   in Loop: Header=BB0_7 Depth=1
	s_and_not1_saveexec_b32 s93, s93
; %bb.4263:                             ;   in Loop: Header=BB0_7 Depth=1
	s_delay_alu instid0(VALU_DEP_1)
	v_add_nc_u32_e32 v1, 0x4c0000, v1
; %bb.4264:                             ;   in Loop: Header=BB0_7 Depth=1
	s_or_b32 exec_lo, exec_lo, s93
.LBB0_4265:                             ;   in Loop: Header=BB0_7 Depth=1
	s_and_not1_saveexec_b32 s92, s92
; %bb.4266:                             ;   in Loop: Header=BB0_7 Depth=1
	s_delay_alu instid0(VALU_DEP_1)
	v_add_nc_u32_e32 v1, 0x500000, v1
; %bb.4267:                             ;   in Loop: Header=BB0_7 Depth=1
	s_or_b32 exec_lo, exec_lo, s92
.LBB0_4268:                             ;   in Loop: Header=BB0_7 Depth=1
	s_and_not1_saveexec_b32 s91, s91
; %bb.4269:                             ;   in Loop: Header=BB0_7 Depth=1
	s_delay_alu instid0(VALU_DEP_1)
	v_add_nc_u32_e32 v1, 0x540000, v1
; %bb.4270:                             ;   in Loop: Header=BB0_7 Depth=1
	s_or_b32 exec_lo, exec_lo, s91
.LBB0_4271:                             ;   in Loop: Header=BB0_7 Depth=1
	s_and_not1_saveexec_b32 s90, s90
; %bb.4272:                             ;   in Loop: Header=BB0_7 Depth=1
	s_delay_alu instid0(VALU_DEP_1)
	v_add_nc_u32_e32 v1, 0x580000, v1
; %bb.4273:                             ;   in Loop: Header=BB0_7 Depth=1
	s_or_b32 exec_lo, exec_lo, s90
.LBB0_4274:                             ;   in Loop: Header=BB0_7 Depth=1
	s_and_not1_saveexec_b32 s89, s89
; %bb.4275:                             ;   in Loop: Header=BB0_7 Depth=1
	s_delay_alu instid0(VALU_DEP_1)
	v_add_nc_u32_e32 v1, 0x5c0000, v1
; %bb.4276:                             ;   in Loop: Header=BB0_7 Depth=1
	s_or_b32 exec_lo, exec_lo, s89
.LBB0_4277:                             ;   in Loop: Header=BB0_7 Depth=1
	s_and_not1_saveexec_b32 s88, s88
; %bb.4278:                             ;   in Loop: Header=BB0_7 Depth=1
	s_delay_alu instid0(VALU_DEP_1)
	v_add_nc_u32_e32 v1, 0x600000, v1
; %bb.4279:                             ;   in Loop: Header=BB0_7 Depth=1
	s_or_b32 exec_lo, exec_lo, s88
.LBB0_4280:                             ;   in Loop: Header=BB0_7 Depth=1
	s_and_not1_saveexec_b32 s87, s87
; %bb.4281:                             ;   in Loop: Header=BB0_7 Depth=1
	s_delay_alu instid0(VALU_DEP_1)
	v_add_nc_u32_e32 v1, 0x640000, v1
; %bb.4282:                             ;   in Loop: Header=BB0_7 Depth=1
	s_or_b32 exec_lo, exec_lo, s87
.LBB0_4283:                             ;   in Loop: Header=BB0_7 Depth=1
	s_and_not1_saveexec_b32 s86, s86
; %bb.4284:                             ;   in Loop: Header=BB0_7 Depth=1
	s_delay_alu instid0(VALU_DEP_1)
	v_add_nc_u32_e32 v1, 0x680000, v1
; %bb.4285:                             ;   in Loop: Header=BB0_7 Depth=1
	s_or_b32 exec_lo, exec_lo, s86
.LBB0_4286:                             ;   in Loop: Header=BB0_7 Depth=1
	s_and_not1_saveexec_b32 s85, s85
; %bb.4287:                             ;   in Loop: Header=BB0_7 Depth=1
	s_delay_alu instid0(VALU_DEP_1)
	v_add_nc_u32_e32 v1, 0x6c0000, v1
; %bb.4288:                             ;   in Loop: Header=BB0_7 Depth=1
	s_or_b32 exec_lo, exec_lo, s85
.LBB0_4289:                             ;   in Loop: Header=BB0_7 Depth=1
	s_and_not1_saveexec_b32 s84, s84
; %bb.4290:                             ;   in Loop: Header=BB0_7 Depth=1
	s_delay_alu instid0(VALU_DEP_1)
	v_add_nc_u32_e32 v1, 0x700000, v1
; %bb.4291:                             ;   in Loop: Header=BB0_7 Depth=1
	s_or_b32 exec_lo, exec_lo, s84
.LBB0_4292:                             ;   in Loop: Header=BB0_7 Depth=1
	s_and_not1_saveexec_b32 s83, s83
; %bb.4293:                             ;   in Loop: Header=BB0_7 Depth=1
	s_delay_alu instid0(VALU_DEP_1)
	v_add_nc_u32_e32 v1, 0x740000, v1
; %bb.4294:                             ;   in Loop: Header=BB0_7 Depth=1
	s_or_b32 exec_lo, exec_lo, s83
.LBB0_4295:                             ;   in Loop: Header=BB0_7 Depth=1
	s_and_not1_saveexec_b32 s82, s82
; %bb.4296:                             ;   in Loop: Header=BB0_7 Depth=1
	s_delay_alu instid0(VALU_DEP_1)
	v_add_nc_u32_e32 v1, 0x780000, v1
; %bb.4297:                             ;   in Loop: Header=BB0_7 Depth=1
	s_or_b32 exec_lo, exec_lo, s82
.LBB0_4298:                             ;   in Loop: Header=BB0_7 Depth=1
	s_and_not1_saveexec_b32 s81, s81
; %bb.4299:                             ;   in Loop: Header=BB0_7 Depth=1
	s_delay_alu instid0(VALU_DEP_1)
	v_add_nc_u32_e32 v1, 0x7c0000, v1
; %bb.4300:                             ;   in Loop: Header=BB0_7 Depth=1
	s_or_b32 exec_lo, exec_lo, s81
.LBB0_4301:                             ;   in Loop: Header=BB0_7 Depth=1
	s_delay_alu instid0(SALU_CYCLE_1) | instskip(SKIP_1) | instid1(SALU_CYCLE_1)
	s_or_b32 exec_lo, exec_lo, s80
	s_or_b32 s80, s33, 39
	v_cmp_ge_u32_e32 vcc_lo, s80, v0
	s_and_saveexec_b32 s80, vcc_lo
	s_delay_alu instid0(SALU_CYCLE_1)
	s_xor_b32 s80, exec_lo, s80
; %bb.4302:                             ;   in Loop: Header=BB0_7 Depth=1
	v_add_nc_u32_e32 v1, 0x7c000000, v1
; %bb.4303:                             ;   in Loop: Header=BB0_7 Depth=1
	s_and_not1_saveexec_b32 s80, s80
	s_cbranch_execz .LBB0_4427
; %bb.4304:                             ;   in Loop: Header=BB0_7 Depth=1
	s_add_co_i32 s81, s62, 0
	s_delay_alu instid0(SALU_CYCLE_1)
	v_mov_b32_e32 v8, s81
	s_mov_b32 s81, exec_lo
	ds_load_2addr_b64 v[12:15], v8 offset0:117 offset1:118
	ds_load_b64 v[16:17], v8 offset:952
	s_wait_dscnt 0x1
	v_mul_f64_e32 v[8:9], v[4:5], v[14:15]
	s_delay_alu instid0(VALU_DEP_1) | instskip(SKIP_1) | instid1(VALU_DEP_1)
	v_fmac_f64_e32 v[8:9], v[2:3], v[12:13]
	s_wait_dscnt 0x0
	v_fmac_f64_e32 v[8:9], v[6:7], v[16:17]
	s_delay_alu instid0(VALU_DEP_1)
	v_cmpx_ngt_f64_e32 s[60:61], v[8:9]
	s_xor_b32 s81, exec_lo, s81
	s_cbranch_execz .LBB0_4424
; %bb.4305:                             ;   in Loop: Header=BB0_7 Depth=1
	s_mov_b32 s82, exec_lo
	v_cmpx_ngt_f64_e32 s[66:67], v[8:9]
	s_xor_b32 s82, exec_lo, s82
	s_cbranch_execz .LBB0_4421
; %bb.4306:                             ;   in Loop: Header=BB0_7 Depth=1
	s_mov_b32 s83, exec_lo
	;; [unrolled: 5-line block ×21, first 2 shown]
	v_cmpx_ngt_f64_e32 s[18:19], v[8:9]
	s_xor_b32 s104, exec_lo, s104
	s_cbranch_execz .LBB0_4361
; %bb.4326:                             ;   in Loop: Header=BB0_7 Depth=1
	s_mov_b32 vcc_hi, exec_lo
	v_cmpx_ngt_f64_e32 s[16:17], v[8:9]
	s_xor_b32 vcc_hi, exec_lo, vcc_hi
	s_delay_alu instid0(SALU_CYCLE_1)
	v_writelane_b32 v18, vcc_hi, 0
	s_cbranch_execz .LBB0_4358
; %bb.4327:                             ;   in Loop: Header=BB0_7 Depth=1
	s_mov_b32 vcc_hi, exec_lo
	v_cmpx_ngt_f64_e32 s[50:51], v[8:9]
	s_xor_b32 vcc_hi, exec_lo, vcc_hi
	s_delay_alu instid0(SALU_CYCLE_1)
	v_writelane_b32 v18, vcc_hi, 1
	;; [unrolled: 7-line block ×8, first 2 shown]
	s_cbranch_execz .LBB0_4337
; %bb.4334:                             ;   in Loop: Header=BB0_7 Depth=1
	s_mov_b32 vcc_lo, exec_lo
	v_cmpx_gt_f64_e32 s[36:37], v[8:9]
; %bb.4335:                             ;   in Loop: Header=BB0_7 Depth=1
	v_add_nc_u32_e32 v1, 0x4000000, v1
; %bb.4336:                             ;   in Loop: Header=BB0_7 Depth=1
	s_or_b32 exec_lo, exec_lo, vcc_lo
.LBB0_4337:                             ;   in Loop: Header=BB0_7 Depth=1
	s_delay_alu instid0(VALU_DEP_1)
	v_readlane_b32 vcc_lo, v18, 8
	s_and_not1_saveexec_b32 vcc_lo, vcc_lo
; %bb.4338:                             ;   in Loop: Header=BB0_7 Depth=1
	v_add_nc_u32_e32 v1, 0x8000000, v1
; %bb.4339:                             ;   in Loop: Header=BB0_7 Depth=1
	s_or_b32 exec_lo, exec_lo, vcc_lo
.LBB0_4340:                             ;   in Loop: Header=BB0_7 Depth=1
	s_delay_alu instid0(VALU_DEP_1)
	v_readlane_b32 vcc_lo, v18, 6
	s_and_not1_saveexec_b32 vcc_lo, vcc_lo
; %bb.4341:                             ;   in Loop: Header=BB0_7 Depth=1
	v_add_nc_u32_e32 v1, 0xc000000, v1
; %bb.4342:                             ;   in Loop: Header=BB0_7 Depth=1
	s_or_b32 exec_lo, exec_lo, vcc_lo
.LBB0_4343:                             ;   in Loop: Header=BB0_7 Depth=1
	s_delay_alu instid0(VALU_DEP_1)
	v_readlane_b32 vcc_lo, v18, 5
	s_and_not1_saveexec_b32 vcc_lo, vcc_lo
; %bb.4344:                             ;   in Loop: Header=BB0_7 Depth=1
	v_add_nc_u32_e32 v1, 0x10000000, v1
; %bb.4345:                             ;   in Loop: Header=BB0_7 Depth=1
	s_or_b32 exec_lo, exec_lo, vcc_lo
.LBB0_4346:                             ;   in Loop: Header=BB0_7 Depth=1
	s_delay_alu instid0(VALU_DEP_1)
	v_readlane_b32 vcc_lo, v18, 4
	s_and_not1_saveexec_b32 vcc_lo, vcc_lo
; %bb.4347:                             ;   in Loop: Header=BB0_7 Depth=1
	v_add_nc_u32_e32 v1, 0x14000000, v1
; %bb.4348:                             ;   in Loop: Header=BB0_7 Depth=1
	s_or_b32 exec_lo, exec_lo, vcc_lo
.LBB0_4349:                             ;   in Loop: Header=BB0_7 Depth=1
	s_delay_alu instid0(VALU_DEP_1)
	v_readlane_b32 vcc_lo, v18, 3
	s_and_not1_saveexec_b32 vcc_lo, vcc_lo
; %bb.4350:                             ;   in Loop: Header=BB0_7 Depth=1
	v_add_nc_u32_e32 v1, 0x18000000, v1
; %bb.4351:                             ;   in Loop: Header=BB0_7 Depth=1
	s_or_b32 exec_lo, exec_lo, vcc_lo
.LBB0_4352:                             ;   in Loop: Header=BB0_7 Depth=1
	s_delay_alu instid0(VALU_DEP_1)
	v_readlane_b32 vcc_lo, v18, 2
	s_and_not1_saveexec_b32 vcc_lo, vcc_lo
; %bb.4353:                             ;   in Loop: Header=BB0_7 Depth=1
	v_add_nc_u32_e32 v1, 0x1c000000, v1
; %bb.4354:                             ;   in Loop: Header=BB0_7 Depth=1
	s_or_b32 exec_lo, exec_lo, vcc_lo
.LBB0_4355:                             ;   in Loop: Header=BB0_7 Depth=1
	s_delay_alu instid0(VALU_DEP_1)
	v_readlane_b32 vcc_lo, v18, 1
	s_and_not1_saveexec_b32 vcc_lo, vcc_lo
; %bb.4356:                             ;   in Loop: Header=BB0_7 Depth=1
	v_add_nc_u32_e32 v1, 0x20000000, v1
; %bb.4357:                             ;   in Loop: Header=BB0_7 Depth=1
	s_or_b32 exec_lo, exec_lo, vcc_lo
.LBB0_4358:                             ;   in Loop: Header=BB0_7 Depth=1
	s_delay_alu instid0(VALU_DEP_1)
	v_readlane_b32 vcc_lo, v18, 0
	s_and_not1_saveexec_b32 vcc_lo, vcc_lo
; %bb.4359:                             ;   in Loop: Header=BB0_7 Depth=1
	v_add_nc_u32_e32 v1, 0x24000000, v1
; %bb.4360:                             ;   in Loop: Header=BB0_7 Depth=1
	s_or_b32 exec_lo, exec_lo, vcc_lo
.LBB0_4361:                             ;   in Loop: Header=BB0_7 Depth=1
	s_and_not1_saveexec_b32 s104, s104
; %bb.4362:                             ;   in Loop: Header=BB0_7 Depth=1
	s_delay_alu instid0(VALU_DEP_1)
	v_add_nc_u32_e32 v1, 0x28000000, v1
; %bb.4363:                             ;   in Loop: Header=BB0_7 Depth=1
	s_or_b32 exec_lo, exec_lo, s104
.LBB0_4364:                             ;   in Loop: Header=BB0_7 Depth=1
	s_and_not1_saveexec_b32 s101, s101
; %bb.4365:                             ;   in Loop: Header=BB0_7 Depth=1
	s_delay_alu instid0(VALU_DEP_1)
	v_add_nc_u32_e32 v1, 0x2c000000, v1
; %bb.4366:                             ;   in Loop: Header=BB0_7 Depth=1
	s_or_b32 exec_lo, exec_lo, s101
.LBB0_4367:                             ;   in Loop: Header=BB0_7 Depth=1
	s_and_not1_saveexec_b32 s100, s100
; %bb.4368:                             ;   in Loop: Header=BB0_7 Depth=1
	s_delay_alu instid0(VALU_DEP_1)
	v_add_nc_u32_e32 v1, 0x30000000, v1
; %bb.4369:                             ;   in Loop: Header=BB0_7 Depth=1
	s_or_b32 exec_lo, exec_lo, s100
.LBB0_4370:                             ;   in Loop: Header=BB0_7 Depth=1
	s_and_not1_saveexec_b32 s99, s99
; %bb.4371:                             ;   in Loop: Header=BB0_7 Depth=1
	s_delay_alu instid0(VALU_DEP_1)
	v_add_nc_u32_e32 v1, 0x34000000, v1
; %bb.4372:                             ;   in Loop: Header=BB0_7 Depth=1
	s_or_b32 exec_lo, exec_lo, s99
.LBB0_4373:                             ;   in Loop: Header=BB0_7 Depth=1
	s_and_not1_saveexec_b32 s98, s98
; %bb.4374:                             ;   in Loop: Header=BB0_7 Depth=1
	s_delay_alu instid0(VALU_DEP_1)
	v_add_nc_u32_e32 v1, 0x38000000, v1
; %bb.4375:                             ;   in Loop: Header=BB0_7 Depth=1
	s_or_b32 exec_lo, exec_lo, s98
.LBB0_4376:                             ;   in Loop: Header=BB0_7 Depth=1
	s_and_not1_saveexec_b32 s97, s97
; %bb.4377:                             ;   in Loop: Header=BB0_7 Depth=1
	s_delay_alu instid0(VALU_DEP_1)
	v_add_nc_u32_e32 v1, 0x3c000000, v1
; %bb.4378:                             ;   in Loop: Header=BB0_7 Depth=1
	s_or_b32 exec_lo, exec_lo, s97
.LBB0_4379:                             ;   in Loop: Header=BB0_7 Depth=1
	s_and_not1_saveexec_b32 s96, s96
; %bb.4380:                             ;   in Loop: Header=BB0_7 Depth=1
	s_delay_alu instid0(VALU_DEP_1)
	v_add_nc_u32_e32 v1, 2.0, v1
; %bb.4381:                             ;   in Loop: Header=BB0_7 Depth=1
	s_or_b32 exec_lo, exec_lo, s96
.LBB0_4382:                             ;   in Loop: Header=BB0_7 Depth=1
	s_and_not1_saveexec_b32 s95, s95
; %bb.4383:                             ;   in Loop: Header=BB0_7 Depth=1
	s_delay_alu instid0(VALU_DEP_1)
	v_add_nc_u32_e32 v1, 0x44000000, v1
; %bb.4384:                             ;   in Loop: Header=BB0_7 Depth=1
	s_or_b32 exec_lo, exec_lo, s95
.LBB0_4385:                             ;   in Loop: Header=BB0_7 Depth=1
	s_and_not1_saveexec_b32 s94, s94
; %bb.4386:                             ;   in Loop: Header=BB0_7 Depth=1
	s_delay_alu instid0(VALU_DEP_1)
	v_add_nc_u32_e32 v1, 0x48000000, v1
; %bb.4387:                             ;   in Loop: Header=BB0_7 Depth=1
	s_or_b32 exec_lo, exec_lo, s94
.LBB0_4388:                             ;   in Loop: Header=BB0_7 Depth=1
	s_and_not1_saveexec_b32 s93, s93
; %bb.4389:                             ;   in Loop: Header=BB0_7 Depth=1
	s_delay_alu instid0(VALU_DEP_1)
	v_add_nc_u32_e32 v1, 0x4c000000, v1
; %bb.4390:                             ;   in Loop: Header=BB0_7 Depth=1
	s_or_b32 exec_lo, exec_lo, s93
.LBB0_4391:                             ;   in Loop: Header=BB0_7 Depth=1
	s_and_not1_saveexec_b32 s92, s92
; %bb.4392:                             ;   in Loop: Header=BB0_7 Depth=1
	s_delay_alu instid0(VALU_DEP_1)
	v_add_nc_u32_e32 v1, 0x50000000, v1
; %bb.4393:                             ;   in Loop: Header=BB0_7 Depth=1
	s_or_b32 exec_lo, exec_lo, s92
.LBB0_4394:                             ;   in Loop: Header=BB0_7 Depth=1
	s_and_not1_saveexec_b32 s91, s91
; %bb.4395:                             ;   in Loop: Header=BB0_7 Depth=1
	s_delay_alu instid0(VALU_DEP_1)
	v_add_nc_u32_e32 v1, 0x54000000, v1
; %bb.4396:                             ;   in Loop: Header=BB0_7 Depth=1
	s_or_b32 exec_lo, exec_lo, s91
.LBB0_4397:                             ;   in Loop: Header=BB0_7 Depth=1
	s_and_not1_saveexec_b32 s90, s90
; %bb.4398:                             ;   in Loop: Header=BB0_7 Depth=1
	s_delay_alu instid0(VALU_DEP_1)
	v_add_nc_u32_e32 v1, 0x58000000, v1
; %bb.4399:                             ;   in Loop: Header=BB0_7 Depth=1
	s_or_b32 exec_lo, exec_lo, s90
.LBB0_4400:                             ;   in Loop: Header=BB0_7 Depth=1
	s_and_not1_saveexec_b32 s89, s89
; %bb.4401:                             ;   in Loop: Header=BB0_7 Depth=1
	s_delay_alu instid0(VALU_DEP_1)
	v_add_nc_u32_e32 v1, 0x5c000000, v1
; %bb.4402:                             ;   in Loop: Header=BB0_7 Depth=1
	s_or_b32 exec_lo, exec_lo, s89
.LBB0_4403:                             ;   in Loop: Header=BB0_7 Depth=1
	s_and_not1_saveexec_b32 s88, s88
; %bb.4404:                             ;   in Loop: Header=BB0_7 Depth=1
	s_delay_alu instid0(VALU_DEP_1)
	v_add_nc_u32_e32 v1, 0x60000000, v1
; %bb.4405:                             ;   in Loop: Header=BB0_7 Depth=1
	s_or_b32 exec_lo, exec_lo, s88
.LBB0_4406:                             ;   in Loop: Header=BB0_7 Depth=1
	s_and_not1_saveexec_b32 s87, s87
; %bb.4407:                             ;   in Loop: Header=BB0_7 Depth=1
	s_delay_alu instid0(VALU_DEP_1)
	v_add_nc_u32_e32 v1, 0x64000000, v1
; %bb.4408:                             ;   in Loop: Header=BB0_7 Depth=1
	s_or_b32 exec_lo, exec_lo, s87
.LBB0_4409:                             ;   in Loop: Header=BB0_7 Depth=1
	s_and_not1_saveexec_b32 s86, s86
; %bb.4410:                             ;   in Loop: Header=BB0_7 Depth=1
	s_delay_alu instid0(VALU_DEP_1)
	v_add_nc_u32_e32 v1, 0x68000000, v1
; %bb.4411:                             ;   in Loop: Header=BB0_7 Depth=1
	s_or_b32 exec_lo, exec_lo, s86
.LBB0_4412:                             ;   in Loop: Header=BB0_7 Depth=1
	s_and_not1_saveexec_b32 s85, s85
; %bb.4413:                             ;   in Loop: Header=BB0_7 Depth=1
	s_delay_alu instid0(VALU_DEP_1)
	v_add_nc_u32_e32 v1, 0x6c000000, v1
; %bb.4414:                             ;   in Loop: Header=BB0_7 Depth=1
	s_or_b32 exec_lo, exec_lo, s85
.LBB0_4415:                             ;   in Loop: Header=BB0_7 Depth=1
	s_and_not1_saveexec_b32 s84, s84
; %bb.4416:                             ;   in Loop: Header=BB0_7 Depth=1
	s_delay_alu instid0(VALU_DEP_1)
	v_add_nc_u32_e32 v1, 0x70000000, v1
; %bb.4417:                             ;   in Loop: Header=BB0_7 Depth=1
	s_or_b32 exec_lo, exec_lo, s84
.LBB0_4418:                             ;   in Loop: Header=BB0_7 Depth=1
	s_and_not1_saveexec_b32 s83, s83
; %bb.4419:                             ;   in Loop: Header=BB0_7 Depth=1
	s_delay_alu instid0(VALU_DEP_1)
	v_add_nc_u32_e32 v1, 0x74000000, v1
; %bb.4420:                             ;   in Loop: Header=BB0_7 Depth=1
	s_or_b32 exec_lo, exec_lo, s83
.LBB0_4421:                             ;   in Loop: Header=BB0_7 Depth=1
	s_and_not1_saveexec_b32 s82, s82
; %bb.4422:                             ;   in Loop: Header=BB0_7 Depth=1
	s_delay_alu instid0(VALU_DEP_1)
	v_add_nc_u32_e32 v1, 0x78000000, v1
; %bb.4423:                             ;   in Loop: Header=BB0_7 Depth=1
	s_or_b32 exec_lo, exec_lo, s82
.LBB0_4424:                             ;   in Loop: Header=BB0_7 Depth=1
	s_and_not1_saveexec_b32 s81, s81
; %bb.4425:                             ;   in Loop: Header=BB0_7 Depth=1
	s_delay_alu instid0(VALU_DEP_1)
	v_add_nc_u32_e32 v1, 0x7c000000, v1
; %bb.4426:                             ;   in Loop: Header=BB0_7 Depth=1
	s_or_b32 exec_lo, exec_lo, s81
.LBB0_4427:                             ;   in Loop: Header=BB0_7 Depth=1
	s_delay_alu instid0(SALU_CYCLE_1)
	s_or_b32 exec_lo, exec_lo, s80
	v_lshl_add_u32 v8, s63, 12, v10
	v_mov_b32_e32 v11, 0x7c
	s_or_b32 s80, s33, 40
	s_mov_b32 s63, exec_lo
	global_store_b32 v8, v1, s[34:35] scale_offset
	s_wait_xcnt 0x0
	v_cmpx_lt_u32_e64 s80, v0
	s_cbranch_execz .LBB0_4491
; %bb.4428:                             ;   in Loop: Header=BB0_7 Depth=1
	s_add_co_i32 s81, s62, 0
	v_mov_b32_e32 v11, 0x7c
	v_mov_b32_e32 v1, s81
	s_mov_b32 s81, exec_lo
	ds_load_2addr_b64 v[12:15], v1 offset0:120 offset1:121
	ds_load_b64 v[16:17], v1 offset:976
	s_wait_dscnt 0x1
	v_mul_f64_e32 v[8:9], v[4:5], v[14:15]
	s_delay_alu instid0(VALU_DEP_1) | instskip(SKIP_1) | instid1(VALU_DEP_1)
	v_fmac_f64_e32 v[8:9], v[2:3], v[12:13]
	s_wait_dscnt 0x0
	v_fmac_f64_e32 v[8:9], v[6:7], v[16:17]
	s_delay_alu instid0(VALU_DEP_1)
	v_cmpx_ngt_f64_e32 s[60:61], v[8:9]
	s_cbranch_execz .LBB0_4490
; %bb.4429:                             ;   in Loop: Header=BB0_7 Depth=1
	v_mov_b32_e32 v11, 0x78
	s_mov_b32 s82, exec_lo
	v_cmpx_ngt_f64_e32 s[66:67], v[8:9]
	s_cbranch_execz .LBB0_4489
; %bb.4430:                             ;   in Loop: Header=BB0_7 Depth=1
	v_mov_b32_e32 v11, 0x74
	s_mov_b32 s83, exec_lo
	;; [unrolled: 5-line block ×21, first 2 shown]
	v_cmpx_ngt_f64_e32 s[18:19], v[8:9]
	s_cbranch_execz .LBB0_4469
; %bb.4450:                             ;   in Loop: Header=BB0_7 Depth=1
	v_mov_b32_e32 v11, 36
	v_cmp_ngt_f64_e32 vcc_lo, s[16:17], v[8:9]
	s_mov_b32 vcc_hi, exec_lo
	s_delay_alu instid0(SALU_CYCLE_1)
	s_and_b32 vcc_lo, vcc_hi, vcc_lo
	v_writelane_b32 v18, vcc_hi, 0
	s_mov_b32 exec_lo, vcc_lo
	s_cbranch_execz .LBB0_4468
; %bb.4451:                             ;   in Loop: Header=BB0_7 Depth=1
	v_mov_b32_e32 v11, 32
	v_cmp_ngt_f64_e32 vcc_lo, s[50:51], v[8:9]
	s_mov_b32 vcc_hi, exec_lo
	s_delay_alu instid0(SALU_CYCLE_1)
	s_and_b32 vcc_lo, vcc_hi, vcc_lo
	v_writelane_b32 v18, vcc_hi, 1
	s_mov_b32 exec_lo, vcc_lo
	;; [unrolled: 9-line block ×8, first 2 shown]
	s_cbranch_execz .LBB0_4461
; %bb.4458:                             ;   in Loop: Header=BB0_7 Depth=1
	v_mov_b32_e32 v11, 0
	s_mov_b32 vcc_hi, exec_lo
	v_cmpx_gt_f64_e32 s[36:37], v[8:9]
; %bb.4459:                             ;   in Loop: Header=BB0_7 Depth=1
	v_mov_b32_e32 v11, 4
; %bb.4460:                             ;   in Loop: Header=BB0_7 Depth=1
	s_or_b32 exec_lo, exec_lo, vcc_hi
.LBB0_4461:                             ;   in Loop: Header=BB0_7 Depth=1
	s_delay_alu instid0(VALU_DEP_1)
	v_readlane_b32 vcc_lo, v18, 8
	s_or_b32 exec_lo, exec_lo, vcc_lo
.LBB0_4462:                             ;   in Loop: Header=BB0_7 Depth=1
	s_delay_alu instid0(VALU_DEP_1)
	v_readlane_b32 vcc_lo, v18, 6
	s_or_b32 exec_lo, exec_lo, vcc_lo
.LBB0_4463:                             ;   in Loop: Header=BB0_7 Depth=1
	s_delay_alu instid0(VALU_DEP_1)
	v_readlane_b32 vcc_lo, v18, 5
	s_or_b32 exec_lo, exec_lo, vcc_lo
.LBB0_4464:                             ;   in Loop: Header=BB0_7 Depth=1
	s_delay_alu instid0(VALU_DEP_1)
	v_readlane_b32 vcc_lo, v18, 4
	s_or_b32 exec_lo, exec_lo, vcc_lo
.LBB0_4465:                             ;   in Loop: Header=BB0_7 Depth=1
	s_delay_alu instid0(VALU_DEP_1)
	v_readlane_b32 vcc_lo, v18, 3
	s_or_b32 exec_lo, exec_lo, vcc_lo
.LBB0_4466:                             ;   in Loop: Header=BB0_7 Depth=1
	s_delay_alu instid0(VALU_DEP_1)
	v_readlane_b32 vcc_lo, v18, 2
	s_or_b32 exec_lo, exec_lo, vcc_lo
.LBB0_4467:                             ;   in Loop: Header=BB0_7 Depth=1
	s_delay_alu instid0(VALU_DEP_1)
	v_readlane_b32 vcc_lo, v18, 1
	s_or_b32 exec_lo, exec_lo, vcc_lo
.LBB0_4468:                             ;   in Loop: Header=BB0_7 Depth=1
	s_delay_alu instid0(VALU_DEP_1)
	v_readlane_b32 vcc_lo, v18, 0
	s_or_b32 exec_lo, exec_lo, vcc_lo
.LBB0_4469:                             ;   in Loop: Header=BB0_7 Depth=1
	s_delay_alu instid0(SALU_CYCLE_1)
	s_or_b32 exec_lo, exec_lo, s104
.LBB0_4470:                             ;   in Loop: Header=BB0_7 Depth=1
	s_delay_alu instid0(SALU_CYCLE_1)
	s_or_b32 exec_lo, exec_lo, s101
.LBB0_4471:                             ;   in Loop: Header=BB0_7 Depth=1
	s_delay_alu instid0(SALU_CYCLE_1)
	s_or_b32 exec_lo, exec_lo, s100
.LBB0_4472:                             ;   in Loop: Header=BB0_7 Depth=1
	s_delay_alu instid0(SALU_CYCLE_1)
	s_or_b32 exec_lo, exec_lo, s99
.LBB0_4473:                             ;   in Loop: Header=BB0_7 Depth=1
	s_delay_alu instid0(SALU_CYCLE_1)
	s_or_b32 exec_lo, exec_lo, s98
.LBB0_4474:                             ;   in Loop: Header=BB0_7 Depth=1
	s_delay_alu instid0(SALU_CYCLE_1)
	s_or_b32 exec_lo, exec_lo, s97
.LBB0_4475:                             ;   in Loop: Header=BB0_7 Depth=1
	s_delay_alu instid0(SALU_CYCLE_1)
	s_or_b32 exec_lo, exec_lo, s96
.LBB0_4476:                             ;   in Loop: Header=BB0_7 Depth=1
	s_delay_alu instid0(SALU_CYCLE_1)
	s_or_b32 exec_lo, exec_lo, s95
.LBB0_4477:                             ;   in Loop: Header=BB0_7 Depth=1
	s_delay_alu instid0(SALU_CYCLE_1)
	s_or_b32 exec_lo, exec_lo, s94
.LBB0_4478:                             ;   in Loop: Header=BB0_7 Depth=1
	s_delay_alu instid0(SALU_CYCLE_1)
	s_or_b32 exec_lo, exec_lo, s93
.LBB0_4479:                             ;   in Loop: Header=BB0_7 Depth=1
	s_delay_alu instid0(SALU_CYCLE_1)
	s_or_b32 exec_lo, exec_lo, s92
.LBB0_4480:                             ;   in Loop: Header=BB0_7 Depth=1
	s_delay_alu instid0(SALU_CYCLE_1)
	s_or_b32 exec_lo, exec_lo, s91
.LBB0_4481:                             ;   in Loop: Header=BB0_7 Depth=1
	s_delay_alu instid0(SALU_CYCLE_1)
	s_or_b32 exec_lo, exec_lo, s90
.LBB0_4482:                             ;   in Loop: Header=BB0_7 Depth=1
	s_delay_alu instid0(SALU_CYCLE_1)
	s_or_b32 exec_lo, exec_lo, s89
.LBB0_4483:                             ;   in Loop: Header=BB0_7 Depth=1
	s_delay_alu instid0(SALU_CYCLE_1)
	s_or_b32 exec_lo, exec_lo, s88
.LBB0_4484:                             ;   in Loop: Header=BB0_7 Depth=1
	s_delay_alu instid0(SALU_CYCLE_1)
	s_or_b32 exec_lo, exec_lo, s87
.LBB0_4485:                             ;   in Loop: Header=BB0_7 Depth=1
	s_delay_alu instid0(SALU_CYCLE_1)
	s_or_b32 exec_lo, exec_lo, s86
.LBB0_4486:                             ;   in Loop: Header=BB0_7 Depth=1
	s_delay_alu instid0(SALU_CYCLE_1)
	s_or_b32 exec_lo, exec_lo, s85
.LBB0_4487:                             ;   in Loop: Header=BB0_7 Depth=1
	s_delay_alu instid0(SALU_CYCLE_1)
	s_or_b32 exec_lo, exec_lo, s84
.LBB0_4488:                             ;   in Loop: Header=BB0_7 Depth=1
	s_delay_alu instid0(SALU_CYCLE_1)
	s_or_b32 exec_lo, exec_lo, s83
.LBB0_4489:                             ;   in Loop: Header=BB0_7 Depth=1
	s_delay_alu instid0(SALU_CYCLE_1)
	s_or_b32 exec_lo, exec_lo, s82
.LBB0_4490:                             ;   in Loop: Header=BB0_7 Depth=1
	s_delay_alu instid0(SALU_CYCLE_1)
	s_or_b32 exec_lo, exec_lo, s81
.LBB0_4491:                             ;   in Loop: Header=BB0_7 Depth=1
	s_delay_alu instid0(SALU_CYCLE_1) | instskip(SKIP_1) | instid1(SALU_CYCLE_1)
	s_or_b32 exec_lo, exec_lo, s63
	s_or_b32 s63, s33, 41
	v_cmp_ge_u32_e32 vcc_lo, s63, v0
	s_and_saveexec_b32 s63, vcc_lo
	s_delay_alu instid0(SALU_CYCLE_1)
	s_xor_b32 s63, exec_lo, s63
; %bb.4492:                             ;   in Loop: Header=BB0_7 Depth=1
	v_or_b32_e32 v11, 0x7c00, v11
; %bb.4493:                             ;   in Loop: Header=BB0_7 Depth=1
	s_and_not1_saveexec_b32 s63, s63
	s_cbranch_execz .LBB0_4617
; %bb.4494:                             ;   in Loop: Header=BB0_7 Depth=1
	s_add_co_i32 s81, s62, 0
	s_delay_alu instid0(SALU_CYCLE_1)
	v_mov_b32_e32 v1, s81
	s_mov_b32 s81, exec_lo
	ds_load_2addr_b64 v[12:15], v1 offset0:123 offset1:124
	ds_load_b64 v[16:17], v1 offset:1000
	s_wait_dscnt 0x1
	v_mul_f64_e32 v[8:9], v[4:5], v[14:15]
	s_delay_alu instid0(VALU_DEP_1) | instskip(SKIP_1) | instid1(VALU_DEP_1)
	v_fmac_f64_e32 v[8:9], v[2:3], v[12:13]
	s_wait_dscnt 0x0
	v_fmac_f64_e32 v[8:9], v[6:7], v[16:17]
	s_delay_alu instid0(VALU_DEP_1)
	v_cmpx_ngt_f64_e32 s[60:61], v[8:9]
	s_xor_b32 s81, exec_lo, s81
	s_cbranch_execz .LBB0_4614
; %bb.4495:                             ;   in Loop: Header=BB0_7 Depth=1
	s_mov_b32 s82, exec_lo
	v_cmpx_ngt_f64_e32 s[66:67], v[8:9]
	s_xor_b32 s82, exec_lo, s82
	s_cbranch_execz .LBB0_4611
; %bb.4496:                             ;   in Loop: Header=BB0_7 Depth=1
	s_mov_b32 s83, exec_lo
	v_cmpx_ngt_f64_e32 s[64:65], v[8:9]
	s_xor_b32 s83, exec_lo, s83
	s_cbranch_execz .LBB0_4608
; %bb.4497:                             ;   in Loop: Header=BB0_7 Depth=1
	s_mov_b32 s84, exec_lo
	v_cmpx_ngt_f64_e32 s[58:59], v[8:9]
	s_xor_b32 s84, exec_lo, s84
	s_cbranch_execz .LBB0_4605
; %bb.4498:                             ;   in Loop: Header=BB0_7 Depth=1
	s_mov_b32 s85, exec_lo
	v_cmpx_ngt_f64_e32 s[56:57], v[8:9]
	s_xor_b32 s85, exec_lo, s85
	s_cbranch_execz .LBB0_4602
; %bb.4499:                             ;   in Loop: Header=BB0_7 Depth=1
	s_mov_b32 s86, exec_lo
	v_cmpx_ngt_f64_e32 s[54:55], v[8:9]
	s_xor_b32 s86, exec_lo, s86
	s_cbranch_execz .LBB0_4599
; %bb.4500:                             ;   in Loop: Header=BB0_7 Depth=1
	s_mov_b32 s87, exec_lo
	v_cmpx_ngt_f64_e32 s[52:53], v[8:9]
	s_xor_b32 s87, exec_lo, s87
	s_cbranch_execz .LBB0_4596
; %bb.4501:                             ;   in Loop: Header=BB0_7 Depth=1
	s_mov_b32 s88, exec_lo
	v_cmpx_ngt_f64_e32 s[14:15], v[8:9]
	s_xor_b32 s88, exec_lo, s88
	s_cbranch_execz .LBB0_4593
; %bb.4502:                             ;   in Loop: Header=BB0_7 Depth=1
	s_mov_b32 s89, exec_lo
	v_cmpx_ngt_f64_e32 s[12:13], v[8:9]
	s_xor_b32 s89, exec_lo, s89
	s_cbranch_execz .LBB0_4590
; %bb.4503:                             ;   in Loop: Header=BB0_7 Depth=1
	s_mov_b32 s90, exec_lo
	v_cmpx_ngt_f64_e32 s[10:11], v[8:9]
	s_xor_b32 s90, exec_lo, s90
	s_cbranch_execz .LBB0_4587
; %bb.4504:                             ;   in Loop: Header=BB0_7 Depth=1
	s_mov_b32 s91, exec_lo
	v_cmpx_ngt_f64_e32 s[8:9], v[8:9]
	s_xor_b32 s91, exec_lo, s91
	s_cbranch_execz .LBB0_4584
; %bb.4505:                             ;   in Loop: Header=BB0_7 Depth=1
	s_mov_b32 s92, exec_lo
	v_cmpx_ngt_f64_e32 s[6:7], v[8:9]
	s_xor_b32 s92, exec_lo, s92
	s_cbranch_execz .LBB0_4581
; %bb.4506:                             ;   in Loop: Header=BB0_7 Depth=1
	s_mov_b32 s93, exec_lo
	v_cmpx_ngt_f64_e32 s[4:5], v[8:9]
	s_xor_b32 s93, exec_lo, s93
	s_cbranch_execz .LBB0_4578
; %bb.4507:                             ;   in Loop: Header=BB0_7 Depth=1
	s_mov_b32 s94, exec_lo
	v_cmpx_ngt_f64_e32 s[2:3], v[8:9]
	s_xor_b32 s94, exec_lo, s94
	s_cbranch_execz .LBB0_4575
; %bb.4508:                             ;   in Loop: Header=BB0_7 Depth=1
	s_mov_b32 s95, exec_lo
	v_cmpx_ngt_f64_e32 s[0:1], v[8:9]
	s_xor_b32 s95, exec_lo, s95
	s_cbranch_execz .LBB0_4572
; %bb.4509:                             ;   in Loop: Header=BB0_7 Depth=1
	s_mov_b32 s96, exec_lo
	v_cmpx_ngt_f64_e32 s[30:31], v[8:9]
	s_xor_b32 s96, exec_lo, s96
	s_cbranch_execz .LBB0_4569
; %bb.4510:                             ;   in Loop: Header=BB0_7 Depth=1
	s_mov_b32 s97, exec_lo
	v_cmpx_ngt_f64_e32 s[28:29], v[8:9]
	s_xor_b32 s97, exec_lo, s97
	s_cbranch_execz .LBB0_4566
; %bb.4511:                             ;   in Loop: Header=BB0_7 Depth=1
	s_mov_b32 s98, exec_lo
	v_cmpx_ngt_f64_e32 s[26:27], v[8:9]
	s_xor_b32 s98, exec_lo, s98
	s_cbranch_execz .LBB0_4563
; %bb.4512:                             ;   in Loop: Header=BB0_7 Depth=1
	s_mov_b32 s99, exec_lo
	v_cmpx_ngt_f64_e32 s[24:25], v[8:9]
	s_xor_b32 s99, exec_lo, s99
	s_cbranch_execz .LBB0_4560
; %bb.4513:                             ;   in Loop: Header=BB0_7 Depth=1
	s_mov_b32 s100, exec_lo
	v_cmpx_ngt_f64_e32 s[22:23], v[8:9]
	s_xor_b32 s100, exec_lo, s100
	s_cbranch_execz .LBB0_4557
; %bb.4514:                             ;   in Loop: Header=BB0_7 Depth=1
	s_mov_b32 s101, exec_lo
	v_cmpx_ngt_f64_e32 s[20:21], v[8:9]
	s_xor_b32 s101, exec_lo, s101
	s_cbranch_execz .LBB0_4554
; %bb.4515:                             ;   in Loop: Header=BB0_7 Depth=1
	s_mov_b32 s104, exec_lo
	v_cmpx_ngt_f64_e32 s[18:19], v[8:9]
	s_xor_b32 s104, exec_lo, s104
	s_cbranch_execz .LBB0_4551
; %bb.4516:                             ;   in Loop: Header=BB0_7 Depth=1
	s_mov_b32 vcc_hi, exec_lo
	v_cmpx_ngt_f64_e32 s[16:17], v[8:9]
	s_xor_b32 vcc_hi, exec_lo, vcc_hi
	s_delay_alu instid0(SALU_CYCLE_1)
	v_writelane_b32 v18, vcc_hi, 0
	s_cbranch_execz .LBB0_4548
; %bb.4517:                             ;   in Loop: Header=BB0_7 Depth=1
	s_mov_b32 vcc_hi, exec_lo
	v_cmpx_ngt_f64_e32 s[50:51], v[8:9]
	s_xor_b32 vcc_hi, exec_lo, vcc_hi
	s_delay_alu instid0(SALU_CYCLE_1)
	v_writelane_b32 v18, vcc_hi, 1
	;; [unrolled: 7-line block ×8, first 2 shown]
	s_cbranch_execz .LBB0_4527
; %bb.4524:                             ;   in Loop: Header=BB0_7 Depth=1
	s_mov_b32 vcc_lo, exec_lo
	v_cmpx_gt_f64_e32 s[36:37], v[8:9]
; %bb.4525:                             ;   in Loop: Header=BB0_7 Depth=1
	v_or_b32_e32 v11, 0x400, v11
; %bb.4526:                             ;   in Loop: Header=BB0_7 Depth=1
	s_or_b32 exec_lo, exec_lo, vcc_lo
.LBB0_4527:                             ;   in Loop: Header=BB0_7 Depth=1
	s_delay_alu instid0(VALU_DEP_1)
	v_readlane_b32 vcc_lo, v18, 8
	s_and_not1_saveexec_b32 vcc_lo, vcc_lo
; %bb.4528:                             ;   in Loop: Header=BB0_7 Depth=1
	v_or_b32_e32 v11, 0x800, v11
; %bb.4529:                             ;   in Loop: Header=BB0_7 Depth=1
	s_or_b32 exec_lo, exec_lo, vcc_lo
.LBB0_4530:                             ;   in Loop: Header=BB0_7 Depth=1
	s_delay_alu instid0(VALU_DEP_1)
	v_readlane_b32 vcc_lo, v18, 6
	s_and_not1_saveexec_b32 vcc_lo, vcc_lo
; %bb.4531:                             ;   in Loop: Header=BB0_7 Depth=1
	v_or_b32_e32 v11, 0xc00, v11
; %bb.4532:                             ;   in Loop: Header=BB0_7 Depth=1
	s_or_b32 exec_lo, exec_lo, vcc_lo
.LBB0_4533:                             ;   in Loop: Header=BB0_7 Depth=1
	s_delay_alu instid0(VALU_DEP_1)
	v_readlane_b32 vcc_lo, v18, 5
	s_and_not1_saveexec_b32 vcc_lo, vcc_lo
; %bb.4534:                             ;   in Loop: Header=BB0_7 Depth=1
	v_or_b32_e32 v11, 0x1000, v11
; %bb.4535:                             ;   in Loop: Header=BB0_7 Depth=1
	s_or_b32 exec_lo, exec_lo, vcc_lo
.LBB0_4536:                             ;   in Loop: Header=BB0_7 Depth=1
	s_delay_alu instid0(VALU_DEP_1)
	v_readlane_b32 vcc_lo, v18, 4
	s_and_not1_saveexec_b32 vcc_lo, vcc_lo
; %bb.4537:                             ;   in Loop: Header=BB0_7 Depth=1
	v_or_b32_e32 v11, 0x1400, v11
; %bb.4538:                             ;   in Loop: Header=BB0_7 Depth=1
	s_or_b32 exec_lo, exec_lo, vcc_lo
.LBB0_4539:                             ;   in Loop: Header=BB0_7 Depth=1
	s_delay_alu instid0(VALU_DEP_1)
	v_readlane_b32 vcc_lo, v18, 3
	s_and_not1_saveexec_b32 vcc_lo, vcc_lo
; %bb.4540:                             ;   in Loop: Header=BB0_7 Depth=1
	v_or_b32_e32 v11, 0x1800, v11
; %bb.4541:                             ;   in Loop: Header=BB0_7 Depth=1
	s_or_b32 exec_lo, exec_lo, vcc_lo
.LBB0_4542:                             ;   in Loop: Header=BB0_7 Depth=1
	s_delay_alu instid0(VALU_DEP_1)
	v_readlane_b32 vcc_lo, v18, 2
	s_and_not1_saveexec_b32 vcc_lo, vcc_lo
; %bb.4543:                             ;   in Loop: Header=BB0_7 Depth=1
	v_or_b32_e32 v11, 0x1c00, v11
; %bb.4544:                             ;   in Loop: Header=BB0_7 Depth=1
	s_or_b32 exec_lo, exec_lo, vcc_lo
.LBB0_4545:                             ;   in Loop: Header=BB0_7 Depth=1
	s_delay_alu instid0(VALU_DEP_1)
	v_readlane_b32 vcc_lo, v18, 1
	s_and_not1_saveexec_b32 vcc_lo, vcc_lo
; %bb.4546:                             ;   in Loop: Header=BB0_7 Depth=1
	v_or_b32_e32 v11, 0x2000, v11
; %bb.4547:                             ;   in Loop: Header=BB0_7 Depth=1
	s_or_b32 exec_lo, exec_lo, vcc_lo
.LBB0_4548:                             ;   in Loop: Header=BB0_7 Depth=1
	s_delay_alu instid0(VALU_DEP_1)
	v_readlane_b32 vcc_lo, v18, 0
	s_and_not1_saveexec_b32 vcc_lo, vcc_lo
; %bb.4549:                             ;   in Loop: Header=BB0_7 Depth=1
	v_or_b32_e32 v11, 0x2400, v11
; %bb.4550:                             ;   in Loop: Header=BB0_7 Depth=1
	s_or_b32 exec_lo, exec_lo, vcc_lo
.LBB0_4551:                             ;   in Loop: Header=BB0_7 Depth=1
	s_and_not1_saveexec_b32 s104, s104
; %bb.4552:                             ;   in Loop: Header=BB0_7 Depth=1
	s_delay_alu instid0(VALU_DEP_1)
	v_or_b32_e32 v11, 0x2800, v11
; %bb.4553:                             ;   in Loop: Header=BB0_7 Depth=1
	s_or_b32 exec_lo, exec_lo, s104
.LBB0_4554:                             ;   in Loop: Header=BB0_7 Depth=1
	s_and_not1_saveexec_b32 s101, s101
; %bb.4555:                             ;   in Loop: Header=BB0_7 Depth=1
	s_delay_alu instid0(VALU_DEP_1)
	v_or_b32_e32 v11, 0x2c00, v11
; %bb.4556:                             ;   in Loop: Header=BB0_7 Depth=1
	s_or_b32 exec_lo, exec_lo, s101
.LBB0_4557:                             ;   in Loop: Header=BB0_7 Depth=1
	s_and_not1_saveexec_b32 s100, s100
; %bb.4558:                             ;   in Loop: Header=BB0_7 Depth=1
	s_delay_alu instid0(VALU_DEP_1)
	v_or_b32_e32 v11, 0x3000, v11
; %bb.4559:                             ;   in Loop: Header=BB0_7 Depth=1
	s_or_b32 exec_lo, exec_lo, s100
.LBB0_4560:                             ;   in Loop: Header=BB0_7 Depth=1
	s_and_not1_saveexec_b32 s99, s99
; %bb.4561:                             ;   in Loop: Header=BB0_7 Depth=1
	s_delay_alu instid0(VALU_DEP_1)
	v_or_b32_e32 v11, 0x3400, v11
; %bb.4562:                             ;   in Loop: Header=BB0_7 Depth=1
	s_or_b32 exec_lo, exec_lo, s99
.LBB0_4563:                             ;   in Loop: Header=BB0_7 Depth=1
	s_and_not1_saveexec_b32 s98, s98
; %bb.4564:                             ;   in Loop: Header=BB0_7 Depth=1
	s_delay_alu instid0(VALU_DEP_1)
	v_or_b32_e32 v11, 0x3800, v11
; %bb.4565:                             ;   in Loop: Header=BB0_7 Depth=1
	s_or_b32 exec_lo, exec_lo, s98
.LBB0_4566:                             ;   in Loop: Header=BB0_7 Depth=1
	s_and_not1_saveexec_b32 s97, s97
; %bb.4567:                             ;   in Loop: Header=BB0_7 Depth=1
	s_delay_alu instid0(VALU_DEP_1)
	v_or_b32_e32 v11, 0x3c00, v11
; %bb.4568:                             ;   in Loop: Header=BB0_7 Depth=1
	s_or_b32 exec_lo, exec_lo, s97
.LBB0_4569:                             ;   in Loop: Header=BB0_7 Depth=1
	s_and_not1_saveexec_b32 s96, s96
; %bb.4570:                             ;   in Loop: Header=BB0_7 Depth=1
	s_delay_alu instid0(VALU_DEP_1)
	v_or_b32_e32 v11, 0x4000, v11
; %bb.4571:                             ;   in Loop: Header=BB0_7 Depth=1
	s_or_b32 exec_lo, exec_lo, s96
.LBB0_4572:                             ;   in Loop: Header=BB0_7 Depth=1
	s_and_not1_saveexec_b32 s95, s95
; %bb.4573:                             ;   in Loop: Header=BB0_7 Depth=1
	s_delay_alu instid0(VALU_DEP_1)
	v_or_b32_e32 v11, 0x4400, v11
; %bb.4574:                             ;   in Loop: Header=BB0_7 Depth=1
	s_or_b32 exec_lo, exec_lo, s95
.LBB0_4575:                             ;   in Loop: Header=BB0_7 Depth=1
	s_and_not1_saveexec_b32 s94, s94
; %bb.4576:                             ;   in Loop: Header=BB0_7 Depth=1
	s_delay_alu instid0(VALU_DEP_1)
	v_or_b32_e32 v11, 0x4800, v11
; %bb.4577:                             ;   in Loop: Header=BB0_7 Depth=1
	s_or_b32 exec_lo, exec_lo, s94
.LBB0_4578:                             ;   in Loop: Header=BB0_7 Depth=1
	s_and_not1_saveexec_b32 s93, s93
; %bb.4579:                             ;   in Loop: Header=BB0_7 Depth=1
	s_delay_alu instid0(VALU_DEP_1)
	v_or_b32_e32 v11, 0x4c00, v11
; %bb.4580:                             ;   in Loop: Header=BB0_7 Depth=1
	s_or_b32 exec_lo, exec_lo, s93
.LBB0_4581:                             ;   in Loop: Header=BB0_7 Depth=1
	s_and_not1_saveexec_b32 s92, s92
; %bb.4582:                             ;   in Loop: Header=BB0_7 Depth=1
	s_delay_alu instid0(VALU_DEP_1)
	v_or_b32_e32 v11, 0x5000, v11
; %bb.4583:                             ;   in Loop: Header=BB0_7 Depth=1
	s_or_b32 exec_lo, exec_lo, s92
.LBB0_4584:                             ;   in Loop: Header=BB0_7 Depth=1
	s_and_not1_saveexec_b32 s91, s91
; %bb.4585:                             ;   in Loop: Header=BB0_7 Depth=1
	s_delay_alu instid0(VALU_DEP_1)
	v_or_b32_e32 v11, 0x5400, v11
; %bb.4586:                             ;   in Loop: Header=BB0_7 Depth=1
	s_or_b32 exec_lo, exec_lo, s91
.LBB0_4587:                             ;   in Loop: Header=BB0_7 Depth=1
	s_and_not1_saveexec_b32 s90, s90
; %bb.4588:                             ;   in Loop: Header=BB0_7 Depth=1
	s_delay_alu instid0(VALU_DEP_1)
	v_or_b32_e32 v11, 0x5800, v11
; %bb.4589:                             ;   in Loop: Header=BB0_7 Depth=1
	s_or_b32 exec_lo, exec_lo, s90
.LBB0_4590:                             ;   in Loop: Header=BB0_7 Depth=1
	s_and_not1_saveexec_b32 s89, s89
; %bb.4591:                             ;   in Loop: Header=BB0_7 Depth=1
	s_delay_alu instid0(VALU_DEP_1)
	v_or_b32_e32 v11, 0x5c00, v11
; %bb.4592:                             ;   in Loop: Header=BB0_7 Depth=1
	s_or_b32 exec_lo, exec_lo, s89
.LBB0_4593:                             ;   in Loop: Header=BB0_7 Depth=1
	s_and_not1_saveexec_b32 s88, s88
; %bb.4594:                             ;   in Loop: Header=BB0_7 Depth=1
	s_delay_alu instid0(VALU_DEP_1)
	v_or_b32_e32 v11, 0x6000, v11
; %bb.4595:                             ;   in Loop: Header=BB0_7 Depth=1
	s_or_b32 exec_lo, exec_lo, s88
.LBB0_4596:                             ;   in Loop: Header=BB0_7 Depth=1
	s_and_not1_saveexec_b32 s87, s87
; %bb.4597:                             ;   in Loop: Header=BB0_7 Depth=1
	s_delay_alu instid0(VALU_DEP_1)
	v_or_b32_e32 v11, 0x6400, v11
; %bb.4598:                             ;   in Loop: Header=BB0_7 Depth=1
	s_or_b32 exec_lo, exec_lo, s87
.LBB0_4599:                             ;   in Loop: Header=BB0_7 Depth=1
	s_and_not1_saveexec_b32 s86, s86
; %bb.4600:                             ;   in Loop: Header=BB0_7 Depth=1
	s_delay_alu instid0(VALU_DEP_1)
	v_or_b32_e32 v11, 0x6800, v11
; %bb.4601:                             ;   in Loop: Header=BB0_7 Depth=1
	s_or_b32 exec_lo, exec_lo, s86
.LBB0_4602:                             ;   in Loop: Header=BB0_7 Depth=1
	s_and_not1_saveexec_b32 s85, s85
; %bb.4603:                             ;   in Loop: Header=BB0_7 Depth=1
	s_delay_alu instid0(VALU_DEP_1)
	v_or_b32_e32 v11, 0x6c00, v11
; %bb.4604:                             ;   in Loop: Header=BB0_7 Depth=1
	s_or_b32 exec_lo, exec_lo, s85
.LBB0_4605:                             ;   in Loop: Header=BB0_7 Depth=1
	s_and_not1_saveexec_b32 s84, s84
; %bb.4606:                             ;   in Loop: Header=BB0_7 Depth=1
	s_delay_alu instid0(VALU_DEP_1)
	v_or_b32_e32 v11, 0x7000, v11
; %bb.4607:                             ;   in Loop: Header=BB0_7 Depth=1
	s_or_b32 exec_lo, exec_lo, s84
.LBB0_4608:                             ;   in Loop: Header=BB0_7 Depth=1
	s_and_not1_saveexec_b32 s83, s83
; %bb.4609:                             ;   in Loop: Header=BB0_7 Depth=1
	s_delay_alu instid0(VALU_DEP_1)
	v_or_b32_e32 v11, 0x7400, v11
; %bb.4610:                             ;   in Loop: Header=BB0_7 Depth=1
	s_or_b32 exec_lo, exec_lo, s83
.LBB0_4611:                             ;   in Loop: Header=BB0_7 Depth=1
	s_and_not1_saveexec_b32 s82, s82
; %bb.4612:                             ;   in Loop: Header=BB0_7 Depth=1
	s_delay_alu instid0(VALU_DEP_1)
	v_or_b32_e32 v11, 0x7800, v11
; %bb.4613:                             ;   in Loop: Header=BB0_7 Depth=1
	s_or_b32 exec_lo, exec_lo, s82
.LBB0_4614:                             ;   in Loop: Header=BB0_7 Depth=1
	s_and_not1_saveexec_b32 s81, s81
; %bb.4615:                             ;   in Loop: Header=BB0_7 Depth=1
	s_delay_alu instid0(VALU_DEP_1)
	v_or_b32_e32 v11, 0x7c00, v11
; %bb.4616:                             ;   in Loop: Header=BB0_7 Depth=1
	s_or_b32 exec_lo, exec_lo, s81
.LBB0_4617:                             ;   in Loop: Header=BB0_7 Depth=1
	s_delay_alu instid0(SALU_CYCLE_1) | instskip(SKIP_1) | instid1(SALU_CYCLE_1)
	s_or_b32 exec_lo, exec_lo, s63
	s_or_b32 s63, s33, 42
	v_cmp_ge_u32_e32 vcc_lo, s63, v0
	s_and_saveexec_b32 s63, vcc_lo
	s_delay_alu instid0(SALU_CYCLE_1)
	s_xor_b32 s63, exec_lo, s63
; %bb.4618:                             ;   in Loop: Header=BB0_7 Depth=1
	v_add_nc_u32_e32 v11, 0x7c0000, v11
; %bb.4619:                             ;   in Loop: Header=BB0_7 Depth=1
	s_and_not1_saveexec_b32 s63, s63
	s_cbranch_execz .LBB0_4743
; %bb.4620:                             ;   in Loop: Header=BB0_7 Depth=1
	s_add_co_i32 s81, s62, 0
	s_delay_alu instid0(SALU_CYCLE_1)
	v_mov_b32_e32 v1, s81
	s_mov_b32 s81, exec_lo
	ds_load_2addr_b64 v[12:15], v1 offset0:126 offset1:127
	ds_load_b64 v[16:17], v1 offset:1024
	s_wait_dscnt 0x1
	v_mul_f64_e32 v[8:9], v[4:5], v[14:15]
	s_delay_alu instid0(VALU_DEP_1) | instskip(SKIP_1) | instid1(VALU_DEP_1)
	v_fmac_f64_e32 v[8:9], v[2:3], v[12:13]
	s_wait_dscnt 0x0
	v_fmac_f64_e32 v[8:9], v[6:7], v[16:17]
	s_delay_alu instid0(VALU_DEP_1)
	v_cmpx_ngt_f64_e32 s[60:61], v[8:9]
	s_xor_b32 s81, exec_lo, s81
	s_cbranch_execz .LBB0_4740
; %bb.4621:                             ;   in Loop: Header=BB0_7 Depth=1
	s_mov_b32 s82, exec_lo
	v_cmpx_ngt_f64_e32 s[66:67], v[8:9]
	s_xor_b32 s82, exec_lo, s82
	s_cbranch_execz .LBB0_4737
; %bb.4622:                             ;   in Loop: Header=BB0_7 Depth=1
	s_mov_b32 s83, exec_lo
	;; [unrolled: 5-line block ×21, first 2 shown]
	v_cmpx_ngt_f64_e32 s[18:19], v[8:9]
	s_xor_b32 s104, exec_lo, s104
	s_cbranch_execz .LBB0_4677
; %bb.4642:                             ;   in Loop: Header=BB0_7 Depth=1
	s_mov_b32 vcc_hi, exec_lo
	v_cmpx_ngt_f64_e32 s[16:17], v[8:9]
	s_xor_b32 vcc_hi, exec_lo, vcc_hi
	s_delay_alu instid0(SALU_CYCLE_1)
	v_writelane_b32 v18, vcc_hi, 0
	s_cbranch_execz .LBB0_4674
; %bb.4643:                             ;   in Loop: Header=BB0_7 Depth=1
	s_mov_b32 vcc_hi, exec_lo
	v_cmpx_ngt_f64_e32 s[50:51], v[8:9]
	s_xor_b32 vcc_hi, exec_lo, vcc_hi
	s_delay_alu instid0(SALU_CYCLE_1)
	v_writelane_b32 v18, vcc_hi, 1
	;; [unrolled: 7-line block ×8, first 2 shown]
	s_cbranch_execz .LBB0_4653
; %bb.4650:                             ;   in Loop: Header=BB0_7 Depth=1
	s_mov_b32 vcc_lo, exec_lo
	v_cmpx_gt_f64_e32 s[36:37], v[8:9]
; %bb.4651:                             ;   in Loop: Header=BB0_7 Depth=1
	v_add_nc_u32_e32 v11, 0x40000, v11
; %bb.4652:                             ;   in Loop: Header=BB0_7 Depth=1
	s_or_b32 exec_lo, exec_lo, vcc_lo
.LBB0_4653:                             ;   in Loop: Header=BB0_7 Depth=1
	s_delay_alu instid0(VALU_DEP_1)
	v_readlane_b32 vcc_lo, v18, 8
	s_and_not1_saveexec_b32 vcc_lo, vcc_lo
; %bb.4654:                             ;   in Loop: Header=BB0_7 Depth=1
	v_add_nc_u32_e32 v11, 0x80000, v11
; %bb.4655:                             ;   in Loop: Header=BB0_7 Depth=1
	s_or_b32 exec_lo, exec_lo, vcc_lo
.LBB0_4656:                             ;   in Loop: Header=BB0_7 Depth=1
	s_delay_alu instid0(VALU_DEP_1)
	v_readlane_b32 vcc_lo, v18, 6
	s_and_not1_saveexec_b32 vcc_lo, vcc_lo
; %bb.4657:                             ;   in Loop: Header=BB0_7 Depth=1
	v_add_nc_u32_e32 v11, 0xc0000, v11
; %bb.4658:                             ;   in Loop: Header=BB0_7 Depth=1
	s_or_b32 exec_lo, exec_lo, vcc_lo
.LBB0_4659:                             ;   in Loop: Header=BB0_7 Depth=1
	s_delay_alu instid0(VALU_DEP_1)
	v_readlane_b32 vcc_lo, v18, 5
	s_and_not1_saveexec_b32 vcc_lo, vcc_lo
; %bb.4660:                             ;   in Loop: Header=BB0_7 Depth=1
	v_add_nc_u32_e32 v11, 0x100000, v11
; %bb.4661:                             ;   in Loop: Header=BB0_7 Depth=1
	s_or_b32 exec_lo, exec_lo, vcc_lo
.LBB0_4662:                             ;   in Loop: Header=BB0_7 Depth=1
	s_delay_alu instid0(VALU_DEP_1)
	v_readlane_b32 vcc_lo, v18, 4
	s_and_not1_saveexec_b32 vcc_lo, vcc_lo
; %bb.4663:                             ;   in Loop: Header=BB0_7 Depth=1
	v_add_nc_u32_e32 v11, 0x140000, v11
; %bb.4664:                             ;   in Loop: Header=BB0_7 Depth=1
	s_or_b32 exec_lo, exec_lo, vcc_lo
.LBB0_4665:                             ;   in Loop: Header=BB0_7 Depth=1
	s_delay_alu instid0(VALU_DEP_1)
	v_readlane_b32 vcc_lo, v18, 3
	s_and_not1_saveexec_b32 vcc_lo, vcc_lo
; %bb.4666:                             ;   in Loop: Header=BB0_7 Depth=1
	v_add_nc_u32_e32 v11, 0x180000, v11
; %bb.4667:                             ;   in Loop: Header=BB0_7 Depth=1
	s_or_b32 exec_lo, exec_lo, vcc_lo
.LBB0_4668:                             ;   in Loop: Header=BB0_7 Depth=1
	s_delay_alu instid0(VALU_DEP_1)
	v_readlane_b32 vcc_lo, v18, 2
	s_and_not1_saveexec_b32 vcc_lo, vcc_lo
; %bb.4669:                             ;   in Loop: Header=BB0_7 Depth=1
	v_add_nc_u32_e32 v11, 0x1c0000, v11
; %bb.4670:                             ;   in Loop: Header=BB0_7 Depth=1
	s_or_b32 exec_lo, exec_lo, vcc_lo
.LBB0_4671:                             ;   in Loop: Header=BB0_7 Depth=1
	s_delay_alu instid0(VALU_DEP_1)
	v_readlane_b32 vcc_lo, v18, 1
	s_and_not1_saveexec_b32 vcc_lo, vcc_lo
; %bb.4672:                             ;   in Loop: Header=BB0_7 Depth=1
	v_add_nc_u32_e32 v11, 0x200000, v11
; %bb.4673:                             ;   in Loop: Header=BB0_7 Depth=1
	s_or_b32 exec_lo, exec_lo, vcc_lo
.LBB0_4674:                             ;   in Loop: Header=BB0_7 Depth=1
	s_delay_alu instid0(VALU_DEP_1)
	v_readlane_b32 vcc_lo, v18, 0
	s_and_not1_saveexec_b32 vcc_lo, vcc_lo
; %bb.4675:                             ;   in Loop: Header=BB0_7 Depth=1
	v_add_nc_u32_e32 v11, 0x240000, v11
; %bb.4676:                             ;   in Loop: Header=BB0_7 Depth=1
	s_or_b32 exec_lo, exec_lo, vcc_lo
.LBB0_4677:                             ;   in Loop: Header=BB0_7 Depth=1
	s_and_not1_saveexec_b32 s104, s104
; %bb.4678:                             ;   in Loop: Header=BB0_7 Depth=1
	s_delay_alu instid0(VALU_DEP_1)
	v_add_nc_u32_e32 v11, 0x280000, v11
; %bb.4679:                             ;   in Loop: Header=BB0_7 Depth=1
	s_or_b32 exec_lo, exec_lo, s104
.LBB0_4680:                             ;   in Loop: Header=BB0_7 Depth=1
	s_and_not1_saveexec_b32 s101, s101
; %bb.4681:                             ;   in Loop: Header=BB0_7 Depth=1
	s_delay_alu instid0(VALU_DEP_1)
	v_add_nc_u32_e32 v11, 0x2c0000, v11
; %bb.4682:                             ;   in Loop: Header=BB0_7 Depth=1
	s_or_b32 exec_lo, exec_lo, s101
.LBB0_4683:                             ;   in Loop: Header=BB0_7 Depth=1
	s_and_not1_saveexec_b32 s100, s100
; %bb.4684:                             ;   in Loop: Header=BB0_7 Depth=1
	s_delay_alu instid0(VALU_DEP_1)
	v_add_nc_u32_e32 v11, 0x300000, v11
; %bb.4685:                             ;   in Loop: Header=BB0_7 Depth=1
	s_or_b32 exec_lo, exec_lo, s100
.LBB0_4686:                             ;   in Loop: Header=BB0_7 Depth=1
	s_and_not1_saveexec_b32 s99, s99
; %bb.4687:                             ;   in Loop: Header=BB0_7 Depth=1
	s_delay_alu instid0(VALU_DEP_1)
	v_add_nc_u32_e32 v11, 0x340000, v11
; %bb.4688:                             ;   in Loop: Header=BB0_7 Depth=1
	s_or_b32 exec_lo, exec_lo, s99
.LBB0_4689:                             ;   in Loop: Header=BB0_7 Depth=1
	s_and_not1_saveexec_b32 s98, s98
; %bb.4690:                             ;   in Loop: Header=BB0_7 Depth=1
	s_delay_alu instid0(VALU_DEP_1)
	v_add_nc_u32_e32 v11, 0x380000, v11
; %bb.4691:                             ;   in Loop: Header=BB0_7 Depth=1
	s_or_b32 exec_lo, exec_lo, s98
.LBB0_4692:                             ;   in Loop: Header=BB0_7 Depth=1
	s_and_not1_saveexec_b32 s97, s97
; %bb.4693:                             ;   in Loop: Header=BB0_7 Depth=1
	s_delay_alu instid0(VALU_DEP_1)
	v_add_nc_u32_e32 v11, 0x3c0000, v11
; %bb.4694:                             ;   in Loop: Header=BB0_7 Depth=1
	s_or_b32 exec_lo, exec_lo, s97
.LBB0_4695:                             ;   in Loop: Header=BB0_7 Depth=1
	s_and_not1_saveexec_b32 s96, s96
; %bb.4696:                             ;   in Loop: Header=BB0_7 Depth=1
	s_delay_alu instid0(VALU_DEP_1)
	v_add_nc_u32_e32 v11, 0x400000, v11
; %bb.4697:                             ;   in Loop: Header=BB0_7 Depth=1
	s_or_b32 exec_lo, exec_lo, s96
.LBB0_4698:                             ;   in Loop: Header=BB0_7 Depth=1
	s_and_not1_saveexec_b32 s95, s95
; %bb.4699:                             ;   in Loop: Header=BB0_7 Depth=1
	s_delay_alu instid0(VALU_DEP_1)
	v_add_nc_u32_e32 v11, 0x440000, v11
; %bb.4700:                             ;   in Loop: Header=BB0_7 Depth=1
	s_or_b32 exec_lo, exec_lo, s95
.LBB0_4701:                             ;   in Loop: Header=BB0_7 Depth=1
	s_and_not1_saveexec_b32 s94, s94
; %bb.4702:                             ;   in Loop: Header=BB0_7 Depth=1
	s_delay_alu instid0(VALU_DEP_1)
	v_add_nc_u32_e32 v11, 0x480000, v11
; %bb.4703:                             ;   in Loop: Header=BB0_7 Depth=1
	s_or_b32 exec_lo, exec_lo, s94
.LBB0_4704:                             ;   in Loop: Header=BB0_7 Depth=1
	s_and_not1_saveexec_b32 s93, s93
; %bb.4705:                             ;   in Loop: Header=BB0_7 Depth=1
	s_delay_alu instid0(VALU_DEP_1)
	v_add_nc_u32_e32 v11, 0x4c0000, v11
; %bb.4706:                             ;   in Loop: Header=BB0_7 Depth=1
	s_or_b32 exec_lo, exec_lo, s93
.LBB0_4707:                             ;   in Loop: Header=BB0_7 Depth=1
	s_and_not1_saveexec_b32 s92, s92
; %bb.4708:                             ;   in Loop: Header=BB0_7 Depth=1
	s_delay_alu instid0(VALU_DEP_1)
	v_add_nc_u32_e32 v11, 0x500000, v11
; %bb.4709:                             ;   in Loop: Header=BB0_7 Depth=1
	s_or_b32 exec_lo, exec_lo, s92
.LBB0_4710:                             ;   in Loop: Header=BB0_7 Depth=1
	s_and_not1_saveexec_b32 s91, s91
; %bb.4711:                             ;   in Loop: Header=BB0_7 Depth=1
	s_delay_alu instid0(VALU_DEP_1)
	v_add_nc_u32_e32 v11, 0x540000, v11
; %bb.4712:                             ;   in Loop: Header=BB0_7 Depth=1
	s_or_b32 exec_lo, exec_lo, s91
.LBB0_4713:                             ;   in Loop: Header=BB0_7 Depth=1
	s_and_not1_saveexec_b32 s90, s90
; %bb.4714:                             ;   in Loop: Header=BB0_7 Depth=1
	s_delay_alu instid0(VALU_DEP_1)
	v_add_nc_u32_e32 v11, 0x580000, v11
; %bb.4715:                             ;   in Loop: Header=BB0_7 Depth=1
	s_or_b32 exec_lo, exec_lo, s90
.LBB0_4716:                             ;   in Loop: Header=BB0_7 Depth=1
	s_and_not1_saveexec_b32 s89, s89
; %bb.4717:                             ;   in Loop: Header=BB0_7 Depth=1
	s_delay_alu instid0(VALU_DEP_1)
	v_add_nc_u32_e32 v11, 0x5c0000, v11
; %bb.4718:                             ;   in Loop: Header=BB0_7 Depth=1
	s_or_b32 exec_lo, exec_lo, s89
.LBB0_4719:                             ;   in Loop: Header=BB0_7 Depth=1
	s_and_not1_saveexec_b32 s88, s88
; %bb.4720:                             ;   in Loop: Header=BB0_7 Depth=1
	s_delay_alu instid0(VALU_DEP_1)
	v_add_nc_u32_e32 v11, 0x600000, v11
; %bb.4721:                             ;   in Loop: Header=BB0_7 Depth=1
	s_or_b32 exec_lo, exec_lo, s88
.LBB0_4722:                             ;   in Loop: Header=BB0_7 Depth=1
	s_and_not1_saveexec_b32 s87, s87
; %bb.4723:                             ;   in Loop: Header=BB0_7 Depth=1
	s_delay_alu instid0(VALU_DEP_1)
	v_add_nc_u32_e32 v11, 0x640000, v11
; %bb.4724:                             ;   in Loop: Header=BB0_7 Depth=1
	s_or_b32 exec_lo, exec_lo, s87
.LBB0_4725:                             ;   in Loop: Header=BB0_7 Depth=1
	s_and_not1_saveexec_b32 s86, s86
; %bb.4726:                             ;   in Loop: Header=BB0_7 Depth=1
	s_delay_alu instid0(VALU_DEP_1)
	v_add_nc_u32_e32 v11, 0x680000, v11
; %bb.4727:                             ;   in Loop: Header=BB0_7 Depth=1
	s_or_b32 exec_lo, exec_lo, s86
.LBB0_4728:                             ;   in Loop: Header=BB0_7 Depth=1
	s_and_not1_saveexec_b32 s85, s85
; %bb.4729:                             ;   in Loop: Header=BB0_7 Depth=1
	s_delay_alu instid0(VALU_DEP_1)
	v_add_nc_u32_e32 v11, 0x6c0000, v11
; %bb.4730:                             ;   in Loop: Header=BB0_7 Depth=1
	s_or_b32 exec_lo, exec_lo, s85
.LBB0_4731:                             ;   in Loop: Header=BB0_7 Depth=1
	s_and_not1_saveexec_b32 s84, s84
; %bb.4732:                             ;   in Loop: Header=BB0_7 Depth=1
	s_delay_alu instid0(VALU_DEP_1)
	v_add_nc_u32_e32 v11, 0x700000, v11
; %bb.4733:                             ;   in Loop: Header=BB0_7 Depth=1
	s_or_b32 exec_lo, exec_lo, s84
.LBB0_4734:                             ;   in Loop: Header=BB0_7 Depth=1
	s_and_not1_saveexec_b32 s83, s83
; %bb.4735:                             ;   in Loop: Header=BB0_7 Depth=1
	s_delay_alu instid0(VALU_DEP_1)
	v_add_nc_u32_e32 v11, 0x740000, v11
; %bb.4736:                             ;   in Loop: Header=BB0_7 Depth=1
	s_or_b32 exec_lo, exec_lo, s83
.LBB0_4737:                             ;   in Loop: Header=BB0_7 Depth=1
	s_and_not1_saveexec_b32 s82, s82
; %bb.4738:                             ;   in Loop: Header=BB0_7 Depth=1
	s_delay_alu instid0(VALU_DEP_1)
	v_add_nc_u32_e32 v11, 0x780000, v11
; %bb.4739:                             ;   in Loop: Header=BB0_7 Depth=1
	s_or_b32 exec_lo, exec_lo, s82
.LBB0_4740:                             ;   in Loop: Header=BB0_7 Depth=1
	s_and_not1_saveexec_b32 s81, s81
; %bb.4741:                             ;   in Loop: Header=BB0_7 Depth=1
	s_delay_alu instid0(VALU_DEP_1)
	v_add_nc_u32_e32 v11, 0x7c0000, v11
; %bb.4742:                             ;   in Loop: Header=BB0_7 Depth=1
	s_or_b32 exec_lo, exec_lo, s81
.LBB0_4743:                             ;   in Loop: Header=BB0_7 Depth=1
	s_delay_alu instid0(SALU_CYCLE_1) | instskip(SKIP_1) | instid1(SALU_CYCLE_1)
	s_or_b32 exec_lo, exec_lo, s63
	s_or_b32 s63, s33, 43
	v_cmp_ge_u32_e32 vcc_lo, s63, v0
	s_and_saveexec_b32 s63, vcc_lo
	s_delay_alu instid0(SALU_CYCLE_1)
	s_xor_b32 s63, exec_lo, s63
; %bb.4744:                             ;   in Loop: Header=BB0_7 Depth=1
	v_add_nc_u32_e32 v11, 0x7c000000, v11
; %bb.4745:                             ;   in Loop: Header=BB0_7 Depth=1
	s_and_not1_saveexec_b32 s63, s63
	s_cbranch_execz .LBB0_4869
; %bb.4746:                             ;   in Loop: Header=BB0_7 Depth=1
	s_add_co_i32 s81, s62, 0
	s_delay_alu instid0(SALU_CYCLE_1)
	v_mov_b32_e32 v1, s81
	s_mov_b32 s81, exec_lo
	ds_load_2addr_b64 v[12:15], v1 offset0:129 offset1:130
	ds_load_b64 v[16:17], v1 offset:1048
	s_wait_dscnt 0x1
	v_mul_f64_e32 v[8:9], v[4:5], v[14:15]
	s_delay_alu instid0(VALU_DEP_1) | instskip(SKIP_1) | instid1(VALU_DEP_1)
	v_fmac_f64_e32 v[8:9], v[2:3], v[12:13]
	s_wait_dscnt 0x0
	v_fmac_f64_e32 v[8:9], v[6:7], v[16:17]
	s_delay_alu instid0(VALU_DEP_1)
	v_cmpx_ngt_f64_e32 s[60:61], v[8:9]
	s_xor_b32 s81, exec_lo, s81
	s_cbranch_execz .LBB0_4866
; %bb.4747:                             ;   in Loop: Header=BB0_7 Depth=1
	s_mov_b32 s82, exec_lo
	v_cmpx_ngt_f64_e32 s[66:67], v[8:9]
	s_xor_b32 s82, exec_lo, s82
	s_cbranch_execz .LBB0_4863
; %bb.4748:                             ;   in Loop: Header=BB0_7 Depth=1
	s_mov_b32 s83, exec_lo
	;; [unrolled: 5-line block ×21, first 2 shown]
	v_cmpx_ngt_f64_e32 s[18:19], v[8:9]
	s_xor_b32 s104, exec_lo, s104
	s_cbranch_execz .LBB0_4803
; %bb.4768:                             ;   in Loop: Header=BB0_7 Depth=1
	s_mov_b32 vcc_hi, exec_lo
	v_cmpx_ngt_f64_e32 s[16:17], v[8:9]
	s_xor_b32 vcc_hi, exec_lo, vcc_hi
	s_delay_alu instid0(SALU_CYCLE_1)
	v_writelane_b32 v18, vcc_hi, 0
	s_cbranch_execz .LBB0_4800
; %bb.4769:                             ;   in Loop: Header=BB0_7 Depth=1
	s_mov_b32 vcc_hi, exec_lo
	v_cmpx_ngt_f64_e32 s[50:51], v[8:9]
	s_xor_b32 vcc_hi, exec_lo, vcc_hi
	s_delay_alu instid0(SALU_CYCLE_1)
	v_writelane_b32 v18, vcc_hi, 1
	;; [unrolled: 7-line block ×8, first 2 shown]
	s_cbranch_execz .LBB0_4779
; %bb.4776:                             ;   in Loop: Header=BB0_7 Depth=1
	s_mov_b32 vcc_lo, exec_lo
	v_cmpx_gt_f64_e32 s[36:37], v[8:9]
; %bb.4777:                             ;   in Loop: Header=BB0_7 Depth=1
	v_add_nc_u32_e32 v11, 0x4000000, v11
; %bb.4778:                             ;   in Loop: Header=BB0_7 Depth=1
	s_or_b32 exec_lo, exec_lo, vcc_lo
.LBB0_4779:                             ;   in Loop: Header=BB0_7 Depth=1
	s_delay_alu instid0(VALU_DEP_1)
	v_readlane_b32 vcc_lo, v18, 8
	s_and_not1_saveexec_b32 vcc_lo, vcc_lo
; %bb.4780:                             ;   in Loop: Header=BB0_7 Depth=1
	v_add_nc_u32_e32 v11, 0x8000000, v11
; %bb.4781:                             ;   in Loop: Header=BB0_7 Depth=1
	s_or_b32 exec_lo, exec_lo, vcc_lo
.LBB0_4782:                             ;   in Loop: Header=BB0_7 Depth=1
	s_delay_alu instid0(VALU_DEP_1)
	v_readlane_b32 vcc_lo, v18, 6
	s_and_not1_saveexec_b32 vcc_lo, vcc_lo
; %bb.4783:                             ;   in Loop: Header=BB0_7 Depth=1
	v_add_nc_u32_e32 v11, 0xc000000, v11
; %bb.4784:                             ;   in Loop: Header=BB0_7 Depth=1
	s_or_b32 exec_lo, exec_lo, vcc_lo
.LBB0_4785:                             ;   in Loop: Header=BB0_7 Depth=1
	s_delay_alu instid0(VALU_DEP_1)
	v_readlane_b32 vcc_lo, v18, 5
	s_and_not1_saveexec_b32 vcc_lo, vcc_lo
; %bb.4786:                             ;   in Loop: Header=BB0_7 Depth=1
	v_add_nc_u32_e32 v11, 0x10000000, v11
; %bb.4787:                             ;   in Loop: Header=BB0_7 Depth=1
	s_or_b32 exec_lo, exec_lo, vcc_lo
.LBB0_4788:                             ;   in Loop: Header=BB0_7 Depth=1
	s_delay_alu instid0(VALU_DEP_1)
	v_readlane_b32 vcc_lo, v18, 4
	s_and_not1_saveexec_b32 vcc_lo, vcc_lo
; %bb.4789:                             ;   in Loop: Header=BB0_7 Depth=1
	v_add_nc_u32_e32 v11, 0x14000000, v11
; %bb.4790:                             ;   in Loop: Header=BB0_7 Depth=1
	s_or_b32 exec_lo, exec_lo, vcc_lo
.LBB0_4791:                             ;   in Loop: Header=BB0_7 Depth=1
	s_delay_alu instid0(VALU_DEP_1)
	v_readlane_b32 vcc_lo, v18, 3
	s_and_not1_saveexec_b32 vcc_lo, vcc_lo
; %bb.4792:                             ;   in Loop: Header=BB0_7 Depth=1
	v_add_nc_u32_e32 v11, 0x18000000, v11
; %bb.4793:                             ;   in Loop: Header=BB0_7 Depth=1
	s_or_b32 exec_lo, exec_lo, vcc_lo
.LBB0_4794:                             ;   in Loop: Header=BB0_7 Depth=1
	s_delay_alu instid0(VALU_DEP_1)
	v_readlane_b32 vcc_lo, v18, 2
	s_and_not1_saveexec_b32 vcc_lo, vcc_lo
; %bb.4795:                             ;   in Loop: Header=BB0_7 Depth=1
	v_add_nc_u32_e32 v11, 0x1c000000, v11
; %bb.4796:                             ;   in Loop: Header=BB0_7 Depth=1
	s_or_b32 exec_lo, exec_lo, vcc_lo
.LBB0_4797:                             ;   in Loop: Header=BB0_7 Depth=1
	s_delay_alu instid0(VALU_DEP_1)
	v_readlane_b32 vcc_lo, v18, 1
	s_and_not1_saveexec_b32 vcc_lo, vcc_lo
; %bb.4798:                             ;   in Loop: Header=BB0_7 Depth=1
	v_add_nc_u32_e32 v11, 0x20000000, v11
; %bb.4799:                             ;   in Loop: Header=BB0_7 Depth=1
	s_or_b32 exec_lo, exec_lo, vcc_lo
.LBB0_4800:                             ;   in Loop: Header=BB0_7 Depth=1
	s_delay_alu instid0(VALU_DEP_1)
	v_readlane_b32 vcc_lo, v18, 0
	s_and_not1_saveexec_b32 vcc_lo, vcc_lo
; %bb.4801:                             ;   in Loop: Header=BB0_7 Depth=1
	v_add_nc_u32_e32 v11, 0x24000000, v11
; %bb.4802:                             ;   in Loop: Header=BB0_7 Depth=1
	s_or_b32 exec_lo, exec_lo, vcc_lo
.LBB0_4803:                             ;   in Loop: Header=BB0_7 Depth=1
	s_and_not1_saveexec_b32 s104, s104
; %bb.4804:                             ;   in Loop: Header=BB0_7 Depth=1
	s_delay_alu instid0(VALU_DEP_1)
	v_add_nc_u32_e32 v11, 0x28000000, v11
; %bb.4805:                             ;   in Loop: Header=BB0_7 Depth=1
	s_or_b32 exec_lo, exec_lo, s104
.LBB0_4806:                             ;   in Loop: Header=BB0_7 Depth=1
	s_and_not1_saveexec_b32 s101, s101
; %bb.4807:                             ;   in Loop: Header=BB0_7 Depth=1
	s_delay_alu instid0(VALU_DEP_1)
	v_add_nc_u32_e32 v11, 0x2c000000, v11
; %bb.4808:                             ;   in Loop: Header=BB0_7 Depth=1
	s_or_b32 exec_lo, exec_lo, s101
.LBB0_4809:                             ;   in Loop: Header=BB0_7 Depth=1
	s_and_not1_saveexec_b32 s100, s100
; %bb.4810:                             ;   in Loop: Header=BB0_7 Depth=1
	s_delay_alu instid0(VALU_DEP_1)
	v_add_nc_u32_e32 v11, 0x30000000, v11
; %bb.4811:                             ;   in Loop: Header=BB0_7 Depth=1
	s_or_b32 exec_lo, exec_lo, s100
.LBB0_4812:                             ;   in Loop: Header=BB0_7 Depth=1
	s_and_not1_saveexec_b32 s99, s99
; %bb.4813:                             ;   in Loop: Header=BB0_7 Depth=1
	s_delay_alu instid0(VALU_DEP_1)
	v_add_nc_u32_e32 v11, 0x34000000, v11
; %bb.4814:                             ;   in Loop: Header=BB0_7 Depth=1
	s_or_b32 exec_lo, exec_lo, s99
.LBB0_4815:                             ;   in Loop: Header=BB0_7 Depth=1
	s_and_not1_saveexec_b32 s98, s98
; %bb.4816:                             ;   in Loop: Header=BB0_7 Depth=1
	s_delay_alu instid0(VALU_DEP_1)
	v_add_nc_u32_e32 v11, 0x38000000, v11
; %bb.4817:                             ;   in Loop: Header=BB0_7 Depth=1
	s_or_b32 exec_lo, exec_lo, s98
.LBB0_4818:                             ;   in Loop: Header=BB0_7 Depth=1
	s_and_not1_saveexec_b32 s97, s97
; %bb.4819:                             ;   in Loop: Header=BB0_7 Depth=1
	s_delay_alu instid0(VALU_DEP_1)
	v_add_nc_u32_e32 v11, 0x3c000000, v11
; %bb.4820:                             ;   in Loop: Header=BB0_7 Depth=1
	s_or_b32 exec_lo, exec_lo, s97
.LBB0_4821:                             ;   in Loop: Header=BB0_7 Depth=1
	s_and_not1_saveexec_b32 s96, s96
; %bb.4822:                             ;   in Loop: Header=BB0_7 Depth=1
	s_delay_alu instid0(VALU_DEP_1)
	v_add_nc_u32_e32 v11, 2.0, v11
; %bb.4823:                             ;   in Loop: Header=BB0_7 Depth=1
	s_or_b32 exec_lo, exec_lo, s96
.LBB0_4824:                             ;   in Loop: Header=BB0_7 Depth=1
	s_and_not1_saveexec_b32 s95, s95
; %bb.4825:                             ;   in Loop: Header=BB0_7 Depth=1
	s_delay_alu instid0(VALU_DEP_1)
	v_add_nc_u32_e32 v11, 0x44000000, v11
; %bb.4826:                             ;   in Loop: Header=BB0_7 Depth=1
	s_or_b32 exec_lo, exec_lo, s95
.LBB0_4827:                             ;   in Loop: Header=BB0_7 Depth=1
	s_and_not1_saveexec_b32 s94, s94
; %bb.4828:                             ;   in Loop: Header=BB0_7 Depth=1
	s_delay_alu instid0(VALU_DEP_1)
	v_add_nc_u32_e32 v11, 0x48000000, v11
; %bb.4829:                             ;   in Loop: Header=BB0_7 Depth=1
	s_or_b32 exec_lo, exec_lo, s94
.LBB0_4830:                             ;   in Loop: Header=BB0_7 Depth=1
	s_and_not1_saveexec_b32 s93, s93
; %bb.4831:                             ;   in Loop: Header=BB0_7 Depth=1
	s_delay_alu instid0(VALU_DEP_1)
	v_add_nc_u32_e32 v11, 0x4c000000, v11
; %bb.4832:                             ;   in Loop: Header=BB0_7 Depth=1
	s_or_b32 exec_lo, exec_lo, s93
.LBB0_4833:                             ;   in Loop: Header=BB0_7 Depth=1
	s_and_not1_saveexec_b32 s92, s92
; %bb.4834:                             ;   in Loop: Header=BB0_7 Depth=1
	s_delay_alu instid0(VALU_DEP_1)
	v_add_nc_u32_e32 v11, 0x50000000, v11
; %bb.4835:                             ;   in Loop: Header=BB0_7 Depth=1
	s_or_b32 exec_lo, exec_lo, s92
.LBB0_4836:                             ;   in Loop: Header=BB0_7 Depth=1
	s_and_not1_saveexec_b32 s91, s91
; %bb.4837:                             ;   in Loop: Header=BB0_7 Depth=1
	s_delay_alu instid0(VALU_DEP_1)
	v_add_nc_u32_e32 v11, 0x54000000, v11
; %bb.4838:                             ;   in Loop: Header=BB0_7 Depth=1
	s_or_b32 exec_lo, exec_lo, s91
.LBB0_4839:                             ;   in Loop: Header=BB0_7 Depth=1
	s_and_not1_saveexec_b32 s90, s90
; %bb.4840:                             ;   in Loop: Header=BB0_7 Depth=1
	s_delay_alu instid0(VALU_DEP_1)
	v_add_nc_u32_e32 v11, 0x58000000, v11
; %bb.4841:                             ;   in Loop: Header=BB0_7 Depth=1
	s_or_b32 exec_lo, exec_lo, s90
.LBB0_4842:                             ;   in Loop: Header=BB0_7 Depth=1
	s_and_not1_saveexec_b32 s89, s89
; %bb.4843:                             ;   in Loop: Header=BB0_7 Depth=1
	s_delay_alu instid0(VALU_DEP_1)
	v_add_nc_u32_e32 v11, 0x5c000000, v11
; %bb.4844:                             ;   in Loop: Header=BB0_7 Depth=1
	s_or_b32 exec_lo, exec_lo, s89
.LBB0_4845:                             ;   in Loop: Header=BB0_7 Depth=1
	s_and_not1_saveexec_b32 s88, s88
; %bb.4846:                             ;   in Loop: Header=BB0_7 Depth=1
	s_delay_alu instid0(VALU_DEP_1)
	v_add_nc_u32_e32 v11, 0x60000000, v11
; %bb.4847:                             ;   in Loop: Header=BB0_7 Depth=1
	s_or_b32 exec_lo, exec_lo, s88
.LBB0_4848:                             ;   in Loop: Header=BB0_7 Depth=1
	s_and_not1_saveexec_b32 s87, s87
; %bb.4849:                             ;   in Loop: Header=BB0_7 Depth=1
	s_delay_alu instid0(VALU_DEP_1)
	v_add_nc_u32_e32 v11, 0x64000000, v11
; %bb.4850:                             ;   in Loop: Header=BB0_7 Depth=1
	s_or_b32 exec_lo, exec_lo, s87
.LBB0_4851:                             ;   in Loop: Header=BB0_7 Depth=1
	s_and_not1_saveexec_b32 s86, s86
; %bb.4852:                             ;   in Loop: Header=BB0_7 Depth=1
	s_delay_alu instid0(VALU_DEP_1)
	v_add_nc_u32_e32 v11, 0x68000000, v11
; %bb.4853:                             ;   in Loop: Header=BB0_7 Depth=1
	s_or_b32 exec_lo, exec_lo, s86
.LBB0_4854:                             ;   in Loop: Header=BB0_7 Depth=1
	s_and_not1_saveexec_b32 s85, s85
; %bb.4855:                             ;   in Loop: Header=BB0_7 Depth=1
	s_delay_alu instid0(VALU_DEP_1)
	v_add_nc_u32_e32 v11, 0x6c000000, v11
; %bb.4856:                             ;   in Loop: Header=BB0_7 Depth=1
	s_or_b32 exec_lo, exec_lo, s85
.LBB0_4857:                             ;   in Loop: Header=BB0_7 Depth=1
	s_and_not1_saveexec_b32 s84, s84
; %bb.4858:                             ;   in Loop: Header=BB0_7 Depth=1
	s_delay_alu instid0(VALU_DEP_1)
	v_add_nc_u32_e32 v11, 0x70000000, v11
; %bb.4859:                             ;   in Loop: Header=BB0_7 Depth=1
	s_or_b32 exec_lo, exec_lo, s84
.LBB0_4860:                             ;   in Loop: Header=BB0_7 Depth=1
	s_and_not1_saveexec_b32 s83, s83
; %bb.4861:                             ;   in Loop: Header=BB0_7 Depth=1
	s_delay_alu instid0(VALU_DEP_1)
	v_add_nc_u32_e32 v11, 0x74000000, v11
; %bb.4862:                             ;   in Loop: Header=BB0_7 Depth=1
	s_or_b32 exec_lo, exec_lo, s83
.LBB0_4863:                             ;   in Loop: Header=BB0_7 Depth=1
	s_and_not1_saveexec_b32 s82, s82
; %bb.4864:                             ;   in Loop: Header=BB0_7 Depth=1
	s_delay_alu instid0(VALU_DEP_1)
	v_add_nc_u32_e32 v11, 0x78000000, v11
; %bb.4865:                             ;   in Loop: Header=BB0_7 Depth=1
	s_or_b32 exec_lo, exec_lo, s82
.LBB0_4866:                             ;   in Loop: Header=BB0_7 Depth=1
	s_and_not1_saveexec_b32 s81, s81
; %bb.4867:                             ;   in Loop: Header=BB0_7 Depth=1
	s_delay_alu instid0(VALU_DEP_1)
	v_add_nc_u32_e32 v11, 0x7c000000, v11
; %bb.4868:                             ;   in Loop: Header=BB0_7 Depth=1
	s_or_b32 exec_lo, exec_lo, s81
.LBB0_4869:                             ;   in Loop: Header=BB0_7 Depth=1
	s_delay_alu instid0(SALU_CYCLE_1)
	s_or_b32 exec_lo, exec_lo, s63
	v_lshl_add_u32 v8, s80, 12, v10
	v_mov_b32_e32 v1, 0x7c
	s_or_b32 s63, s33, 44
	s_mov_b32 s80, exec_lo
	global_store_b32 v8, v11, s[34:35] scale_offset
	s_wait_xcnt 0x0
	v_cmpx_lt_u32_e64 s63, v0
	s_cbranch_execz .LBB0_4933
; %bb.4870:                             ;   in Loop: Header=BB0_7 Depth=1
	s_add_co_i32 s81, s62, 0
	s_delay_alu instid0(SALU_CYCLE_1)
	v_mov_b32_e32 v1, s81
	s_mov_b32 s81, exec_lo
	ds_load_2addr_b64 v[12:15], v1 offset0:132 offset1:133
	ds_load_b64 v[16:17], v1 offset:1072
	v_mov_b32_e32 v1, 0x7c
	s_wait_dscnt 0x1
	v_mul_f64_e32 v[8:9], v[4:5], v[14:15]
	s_delay_alu instid0(VALU_DEP_1) | instskip(SKIP_1) | instid1(VALU_DEP_1)
	v_fmac_f64_e32 v[8:9], v[2:3], v[12:13]
	s_wait_dscnt 0x0
	v_fmac_f64_e32 v[8:9], v[6:7], v[16:17]
	s_delay_alu instid0(VALU_DEP_1)
	v_cmpx_ngt_f64_e32 s[60:61], v[8:9]
	s_cbranch_execz .LBB0_4932
; %bb.4871:                             ;   in Loop: Header=BB0_7 Depth=1
	v_mov_b32_e32 v1, 0x78
	s_mov_b32 s82, exec_lo
	v_cmpx_ngt_f64_e32 s[66:67], v[8:9]
	s_cbranch_execz .LBB0_4931
; %bb.4872:                             ;   in Loop: Header=BB0_7 Depth=1
	v_mov_b32_e32 v1, 0x74
	s_mov_b32 s83, exec_lo
	;; [unrolled: 5-line block ×21, first 2 shown]
	v_cmpx_ngt_f64_e32 s[18:19], v[8:9]
	s_cbranch_execz .LBB0_4911
; %bb.4892:                             ;   in Loop: Header=BB0_7 Depth=1
	v_mov_b32_e32 v1, 36
	v_cmp_ngt_f64_e32 vcc_lo, s[16:17], v[8:9]
	s_mov_b32 vcc_hi, exec_lo
	s_delay_alu instid0(SALU_CYCLE_1)
	s_and_b32 vcc_lo, vcc_hi, vcc_lo
	v_writelane_b32 v18, vcc_hi, 0
	s_mov_b32 exec_lo, vcc_lo
	s_cbranch_execz .LBB0_4910
; %bb.4893:                             ;   in Loop: Header=BB0_7 Depth=1
	v_mov_b32_e32 v1, 32
	v_cmp_ngt_f64_e32 vcc_lo, s[50:51], v[8:9]
	s_mov_b32 vcc_hi, exec_lo
	s_delay_alu instid0(SALU_CYCLE_1)
	s_and_b32 vcc_lo, vcc_hi, vcc_lo
	v_writelane_b32 v18, vcc_hi, 1
	s_mov_b32 exec_lo, vcc_lo
	s_cbranch_execz .LBB0_4909
; %bb.4894:                             ;   in Loop: Header=BB0_7 Depth=1
	v_mov_b32_e32 v1, 28
	v_cmp_ngt_f64_e32 vcc_lo, s[48:49], v[8:9]
	s_mov_b32 vcc_hi, exec_lo
	s_delay_alu instid0(SALU_CYCLE_1)
	s_and_b32 vcc_lo, vcc_hi, vcc_lo
	v_writelane_b32 v18, vcc_hi, 2
	s_mov_b32 exec_lo, vcc_lo
	s_cbranch_execz .LBB0_4908
; %bb.4895:                             ;   in Loop: Header=BB0_7 Depth=1
	v_mov_b32_e32 v1, 24
	v_cmp_ngt_f64_e32 vcc_lo, s[46:47], v[8:9]
	s_mov_b32 vcc_hi, exec_lo
	s_delay_alu instid0(SALU_CYCLE_1)
	s_and_b32 vcc_lo, vcc_hi, vcc_lo
	v_writelane_b32 v18, vcc_hi, 3
	s_mov_b32 exec_lo, vcc_lo
	s_cbranch_execz .LBB0_4907
; %bb.4896:                             ;   in Loop: Header=BB0_7 Depth=1
	v_mov_b32_e32 v1, 20
	v_cmp_ngt_f64_e32 vcc_lo, s[44:45], v[8:9]
	s_mov_b32 vcc_hi, exec_lo
	s_delay_alu instid0(SALU_CYCLE_1)
	s_and_b32 vcc_lo, vcc_hi, vcc_lo
	v_writelane_b32 v18, vcc_hi, 4
	s_mov_b32 exec_lo, vcc_lo
	s_cbranch_execz .LBB0_4906
; %bb.4897:                             ;   in Loop: Header=BB0_7 Depth=1
	v_mov_b32_e32 v1, 16
	v_cmp_ngt_f64_e32 vcc_lo, s[42:43], v[8:9]
	s_mov_b32 vcc_hi, exec_lo
	s_delay_alu instid0(SALU_CYCLE_1)
	s_and_b32 vcc_lo, vcc_hi, vcc_lo
	v_writelane_b32 v18, vcc_hi, 5
	s_mov_b32 exec_lo, vcc_lo
	s_cbranch_execz .LBB0_4905
; %bb.4898:                             ;   in Loop: Header=BB0_7 Depth=1
	v_mov_b32_e32 v1, 12
	v_cmp_ngt_f64_e32 vcc_lo, s[40:41], v[8:9]
	s_mov_b32 vcc_hi, exec_lo
	s_delay_alu instid0(SALU_CYCLE_1)
	s_and_b32 vcc_lo, vcc_hi, vcc_lo
	v_writelane_b32 v18, vcc_hi, 6
	s_mov_b32 exec_lo, vcc_lo
	s_cbranch_execz .LBB0_4904
; %bb.4899:                             ;   in Loop: Header=BB0_7 Depth=1
	v_mov_b32_e32 v1, 8
	v_cmp_ngt_f64_e32 vcc_lo, s[38:39], v[8:9]
	s_mov_b32 vcc_hi, exec_lo
	s_delay_alu instid0(SALU_CYCLE_1)
	s_and_b32 vcc_lo, vcc_hi, vcc_lo
	v_writelane_b32 v18, vcc_hi, 8
	s_mov_b32 exec_lo, vcc_lo
	s_cbranch_execz .LBB0_4903
; %bb.4900:                             ;   in Loop: Header=BB0_7 Depth=1
	v_mov_b32_e32 v1, 0
	s_mov_b32 vcc_hi, exec_lo
	v_cmpx_gt_f64_e32 s[36:37], v[8:9]
; %bb.4901:                             ;   in Loop: Header=BB0_7 Depth=1
	v_mov_b32_e32 v1, 4
; %bb.4902:                             ;   in Loop: Header=BB0_7 Depth=1
	s_or_b32 exec_lo, exec_lo, vcc_hi
.LBB0_4903:                             ;   in Loop: Header=BB0_7 Depth=1
	s_delay_alu instid0(VALU_DEP_1)
	v_readlane_b32 vcc_lo, v18, 8
	s_or_b32 exec_lo, exec_lo, vcc_lo
.LBB0_4904:                             ;   in Loop: Header=BB0_7 Depth=1
	s_delay_alu instid0(VALU_DEP_1)
	v_readlane_b32 vcc_lo, v18, 6
	s_or_b32 exec_lo, exec_lo, vcc_lo
.LBB0_4905:                             ;   in Loop: Header=BB0_7 Depth=1
	s_delay_alu instid0(VALU_DEP_1)
	v_readlane_b32 vcc_lo, v18, 5
	s_or_b32 exec_lo, exec_lo, vcc_lo
.LBB0_4906:                             ;   in Loop: Header=BB0_7 Depth=1
	s_delay_alu instid0(VALU_DEP_1)
	v_readlane_b32 vcc_lo, v18, 4
	s_or_b32 exec_lo, exec_lo, vcc_lo
.LBB0_4907:                             ;   in Loop: Header=BB0_7 Depth=1
	s_delay_alu instid0(VALU_DEP_1)
	v_readlane_b32 vcc_lo, v18, 3
	s_or_b32 exec_lo, exec_lo, vcc_lo
.LBB0_4908:                             ;   in Loop: Header=BB0_7 Depth=1
	s_delay_alu instid0(VALU_DEP_1)
	v_readlane_b32 vcc_lo, v18, 2
	s_or_b32 exec_lo, exec_lo, vcc_lo
.LBB0_4909:                             ;   in Loop: Header=BB0_7 Depth=1
	s_delay_alu instid0(VALU_DEP_1)
	v_readlane_b32 vcc_lo, v18, 1
	s_or_b32 exec_lo, exec_lo, vcc_lo
.LBB0_4910:                             ;   in Loop: Header=BB0_7 Depth=1
	s_delay_alu instid0(VALU_DEP_1)
	v_readlane_b32 vcc_lo, v18, 0
	s_or_b32 exec_lo, exec_lo, vcc_lo
.LBB0_4911:                             ;   in Loop: Header=BB0_7 Depth=1
	s_delay_alu instid0(SALU_CYCLE_1)
	s_or_b32 exec_lo, exec_lo, s104
.LBB0_4912:                             ;   in Loop: Header=BB0_7 Depth=1
	s_delay_alu instid0(SALU_CYCLE_1)
	s_or_b32 exec_lo, exec_lo, s101
.LBB0_4913:                             ;   in Loop: Header=BB0_7 Depth=1
	s_delay_alu instid0(SALU_CYCLE_1)
	s_or_b32 exec_lo, exec_lo, s100
.LBB0_4914:                             ;   in Loop: Header=BB0_7 Depth=1
	s_delay_alu instid0(SALU_CYCLE_1)
	s_or_b32 exec_lo, exec_lo, s99
.LBB0_4915:                             ;   in Loop: Header=BB0_7 Depth=1
	s_delay_alu instid0(SALU_CYCLE_1)
	s_or_b32 exec_lo, exec_lo, s98
.LBB0_4916:                             ;   in Loop: Header=BB0_7 Depth=1
	s_delay_alu instid0(SALU_CYCLE_1)
	s_or_b32 exec_lo, exec_lo, s97
.LBB0_4917:                             ;   in Loop: Header=BB0_7 Depth=1
	s_delay_alu instid0(SALU_CYCLE_1)
	s_or_b32 exec_lo, exec_lo, s96
.LBB0_4918:                             ;   in Loop: Header=BB0_7 Depth=1
	s_delay_alu instid0(SALU_CYCLE_1)
	s_or_b32 exec_lo, exec_lo, s95
.LBB0_4919:                             ;   in Loop: Header=BB0_7 Depth=1
	s_delay_alu instid0(SALU_CYCLE_1)
	s_or_b32 exec_lo, exec_lo, s94
.LBB0_4920:                             ;   in Loop: Header=BB0_7 Depth=1
	s_delay_alu instid0(SALU_CYCLE_1)
	s_or_b32 exec_lo, exec_lo, s93
.LBB0_4921:                             ;   in Loop: Header=BB0_7 Depth=1
	s_delay_alu instid0(SALU_CYCLE_1)
	s_or_b32 exec_lo, exec_lo, s92
.LBB0_4922:                             ;   in Loop: Header=BB0_7 Depth=1
	s_delay_alu instid0(SALU_CYCLE_1)
	s_or_b32 exec_lo, exec_lo, s91
.LBB0_4923:                             ;   in Loop: Header=BB0_7 Depth=1
	s_delay_alu instid0(SALU_CYCLE_1)
	s_or_b32 exec_lo, exec_lo, s90
.LBB0_4924:                             ;   in Loop: Header=BB0_7 Depth=1
	s_delay_alu instid0(SALU_CYCLE_1)
	s_or_b32 exec_lo, exec_lo, s89
.LBB0_4925:                             ;   in Loop: Header=BB0_7 Depth=1
	s_delay_alu instid0(SALU_CYCLE_1)
	s_or_b32 exec_lo, exec_lo, s88
.LBB0_4926:                             ;   in Loop: Header=BB0_7 Depth=1
	s_delay_alu instid0(SALU_CYCLE_1)
	s_or_b32 exec_lo, exec_lo, s87
.LBB0_4927:                             ;   in Loop: Header=BB0_7 Depth=1
	s_delay_alu instid0(SALU_CYCLE_1)
	s_or_b32 exec_lo, exec_lo, s86
.LBB0_4928:                             ;   in Loop: Header=BB0_7 Depth=1
	s_delay_alu instid0(SALU_CYCLE_1)
	s_or_b32 exec_lo, exec_lo, s85
.LBB0_4929:                             ;   in Loop: Header=BB0_7 Depth=1
	s_delay_alu instid0(SALU_CYCLE_1)
	s_or_b32 exec_lo, exec_lo, s84
.LBB0_4930:                             ;   in Loop: Header=BB0_7 Depth=1
	s_delay_alu instid0(SALU_CYCLE_1)
	s_or_b32 exec_lo, exec_lo, s83
.LBB0_4931:                             ;   in Loop: Header=BB0_7 Depth=1
	s_delay_alu instid0(SALU_CYCLE_1)
	s_or_b32 exec_lo, exec_lo, s82
.LBB0_4932:                             ;   in Loop: Header=BB0_7 Depth=1
	s_delay_alu instid0(SALU_CYCLE_1)
	s_or_b32 exec_lo, exec_lo, s81
.LBB0_4933:                             ;   in Loop: Header=BB0_7 Depth=1
	s_delay_alu instid0(SALU_CYCLE_1) | instskip(SKIP_1) | instid1(SALU_CYCLE_1)
	s_or_b32 exec_lo, exec_lo, s80
	s_or_b32 s80, s33, 45
	v_cmp_ge_u32_e32 vcc_lo, s80, v0
	s_and_saveexec_b32 s80, vcc_lo
	s_delay_alu instid0(SALU_CYCLE_1)
	s_xor_b32 s80, exec_lo, s80
; %bb.4934:                             ;   in Loop: Header=BB0_7 Depth=1
	v_or_b32_e32 v1, 0x7c00, v1
; %bb.4935:                             ;   in Loop: Header=BB0_7 Depth=1
	s_and_not1_saveexec_b32 s80, s80
	s_cbranch_execz .LBB0_5059
; %bb.4936:                             ;   in Loop: Header=BB0_7 Depth=1
	s_add_co_i32 s81, s62, 0
	s_delay_alu instid0(SALU_CYCLE_1)
	v_mov_b32_e32 v8, s81
	s_mov_b32 s81, exec_lo
	ds_load_2addr_b64 v[12:15], v8 offset0:135 offset1:136
	ds_load_b64 v[16:17], v8 offset:1096
	s_wait_dscnt 0x1
	v_mul_f64_e32 v[8:9], v[4:5], v[14:15]
	s_delay_alu instid0(VALU_DEP_1) | instskip(SKIP_1) | instid1(VALU_DEP_1)
	v_fmac_f64_e32 v[8:9], v[2:3], v[12:13]
	s_wait_dscnt 0x0
	v_fmac_f64_e32 v[8:9], v[6:7], v[16:17]
	s_delay_alu instid0(VALU_DEP_1)
	v_cmpx_ngt_f64_e32 s[60:61], v[8:9]
	s_xor_b32 s81, exec_lo, s81
	s_cbranch_execz .LBB0_5056
; %bb.4937:                             ;   in Loop: Header=BB0_7 Depth=1
	s_mov_b32 s82, exec_lo
	v_cmpx_ngt_f64_e32 s[66:67], v[8:9]
	s_xor_b32 s82, exec_lo, s82
	s_cbranch_execz .LBB0_5053
; %bb.4938:                             ;   in Loop: Header=BB0_7 Depth=1
	s_mov_b32 s83, exec_lo
	;; [unrolled: 5-line block ×21, first 2 shown]
	v_cmpx_ngt_f64_e32 s[18:19], v[8:9]
	s_xor_b32 s104, exec_lo, s104
	s_cbranch_execz .LBB0_4993
; %bb.4958:                             ;   in Loop: Header=BB0_7 Depth=1
	s_mov_b32 vcc_hi, exec_lo
	v_cmpx_ngt_f64_e32 s[16:17], v[8:9]
	s_xor_b32 vcc_hi, exec_lo, vcc_hi
	s_delay_alu instid0(SALU_CYCLE_1)
	v_writelane_b32 v18, vcc_hi, 0
	s_cbranch_execz .LBB0_4990
; %bb.4959:                             ;   in Loop: Header=BB0_7 Depth=1
	s_mov_b32 vcc_hi, exec_lo
	v_cmpx_ngt_f64_e32 s[50:51], v[8:9]
	s_xor_b32 vcc_hi, exec_lo, vcc_hi
	s_delay_alu instid0(SALU_CYCLE_1)
	v_writelane_b32 v18, vcc_hi, 1
	;; [unrolled: 7-line block ×8, first 2 shown]
	s_cbranch_execz .LBB0_4969
; %bb.4966:                             ;   in Loop: Header=BB0_7 Depth=1
	s_mov_b32 vcc_lo, exec_lo
	v_cmpx_gt_f64_e32 s[36:37], v[8:9]
; %bb.4967:                             ;   in Loop: Header=BB0_7 Depth=1
	v_or_b32_e32 v1, 0x400, v1
; %bb.4968:                             ;   in Loop: Header=BB0_7 Depth=1
	s_or_b32 exec_lo, exec_lo, vcc_lo
.LBB0_4969:                             ;   in Loop: Header=BB0_7 Depth=1
	s_delay_alu instid0(VALU_DEP_1)
	v_readlane_b32 vcc_lo, v18, 8
	s_and_not1_saveexec_b32 vcc_lo, vcc_lo
; %bb.4970:                             ;   in Loop: Header=BB0_7 Depth=1
	v_or_b32_e32 v1, 0x800, v1
; %bb.4971:                             ;   in Loop: Header=BB0_7 Depth=1
	s_or_b32 exec_lo, exec_lo, vcc_lo
.LBB0_4972:                             ;   in Loop: Header=BB0_7 Depth=1
	s_delay_alu instid0(VALU_DEP_1)
	v_readlane_b32 vcc_lo, v18, 6
	s_and_not1_saveexec_b32 vcc_lo, vcc_lo
; %bb.4973:                             ;   in Loop: Header=BB0_7 Depth=1
	v_or_b32_e32 v1, 0xc00, v1
; %bb.4974:                             ;   in Loop: Header=BB0_7 Depth=1
	s_or_b32 exec_lo, exec_lo, vcc_lo
.LBB0_4975:                             ;   in Loop: Header=BB0_7 Depth=1
	s_delay_alu instid0(VALU_DEP_1)
	v_readlane_b32 vcc_lo, v18, 5
	s_and_not1_saveexec_b32 vcc_lo, vcc_lo
; %bb.4976:                             ;   in Loop: Header=BB0_7 Depth=1
	v_or_b32_e32 v1, 0x1000, v1
; %bb.4977:                             ;   in Loop: Header=BB0_7 Depth=1
	s_or_b32 exec_lo, exec_lo, vcc_lo
.LBB0_4978:                             ;   in Loop: Header=BB0_7 Depth=1
	s_delay_alu instid0(VALU_DEP_1)
	v_readlane_b32 vcc_lo, v18, 4
	s_and_not1_saveexec_b32 vcc_lo, vcc_lo
; %bb.4979:                             ;   in Loop: Header=BB0_7 Depth=1
	v_or_b32_e32 v1, 0x1400, v1
; %bb.4980:                             ;   in Loop: Header=BB0_7 Depth=1
	s_or_b32 exec_lo, exec_lo, vcc_lo
.LBB0_4981:                             ;   in Loop: Header=BB0_7 Depth=1
	s_delay_alu instid0(VALU_DEP_1)
	v_readlane_b32 vcc_lo, v18, 3
	s_and_not1_saveexec_b32 vcc_lo, vcc_lo
; %bb.4982:                             ;   in Loop: Header=BB0_7 Depth=1
	v_or_b32_e32 v1, 0x1800, v1
; %bb.4983:                             ;   in Loop: Header=BB0_7 Depth=1
	s_or_b32 exec_lo, exec_lo, vcc_lo
.LBB0_4984:                             ;   in Loop: Header=BB0_7 Depth=1
	s_delay_alu instid0(VALU_DEP_1)
	v_readlane_b32 vcc_lo, v18, 2
	s_and_not1_saveexec_b32 vcc_lo, vcc_lo
; %bb.4985:                             ;   in Loop: Header=BB0_7 Depth=1
	v_or_b32_e32 v1, 0x1c00, v1
; %bb.4986:                             ;   in Loop: Header=BB0_7 Depth=1
	s_or_b32 exec_lo, exec_lo, vcc_lo
.LBB0_4987:                             ;   in Loop: Header=BB0_7 Depth=1
	s_delay_alu instid0(VALU_DEP_1)
	v_readlane_b32 vcc_lo, v18, 1
	s_and_not1_saveexec_b32 vcc_lo, vcc_lo
; %bb.4988:                             ;   in Loop: Header=BB0_7 Depth=1
	v_or_b32_e32 v1, 0x2000, v1
; %bb.4989:                             ;   in Loop: Header=BB0_7 Depth=1
	s_or_b32 exec_lo, exec_lo, vcc_lo
.LBB0_4990:                             ;   in Loop: Header=BB0_7 Depth=1
	s_delay_alu instid0(VALU_DEP_1)
	v_readlane_b32 vcc_lo, v18, 0
	s_and_not1_saveexec_b32 vcc_lo, vcc_lo
; %bb.4991:                             ;   in Loop: Header=BB0_7 Depth=1
	v_or_b32_e32 v1, 0x2400, v1
; %bb.4992:                             ;   in Loop: Header=BB0_7 Depth=1
	s_or_b32 exec_lo, exec_lo, vcc_lo
.LBB0_4993:                             ;   in Loop: Header=BB0_7 Depth=1
	s_and_not1_saveexec_b32 s104, s104
; %bb.4994:                             ;   in Loop: Header=BB0_7 Depth=1
	s_delay_alu instid0(VALU_DEP_1)
	v_or_b32_e32 v1, 0x2800, v1
; %bb.4995:                             ;   in Loop: Header=BB0_7 Depth=1
	s_or_b32 exec_lo, exec_lo, s104
.LBB0_4996:                             ;   in Loop: Header=BB0_7 Depth=1
	s_and_not1_saveexec_b32 s101, s101
; %bb.4997:                             ;   in Loop: Header=BB0_7 Depth=1
	s_delay_alu instid0(VALU_DEP_1)
	v_or_b32_e32 v1, 0x2c00, v1
; %bb.4998:                             ;   in Loop: Header=BB0_7 Depth=1
	s_or_b32 exec_lo, exec_lo, s101
.LBB0_4999:                             ;   in Loop: Header=BB0_7 Depth=1
	s_and_not1_saveexec_b32 s100, s100
; %bb.5000:                             ;   in Loop: Header=BB0_7 Depth=1
	s_delay_alu instid0(VALU_DEP_1)
	v_or_b32_e32 v1, 0x3000, v1
; %bb.5001:                             ;   in Loop: Header=BB0_7 Depth=1
	s_or_b32 exec_lo, exec_lo, s100
.LBB0_5002:                             ;   in Loop: Header=BB0_7 Depth=1
	s_and_not1_saveexec_b32 s99, s99
; %bb.5003:                             ;   in Loop: Header=BB0_7 Depth=1
	s_delay_alu instid0(VALU_DEP_1)
	v_or_b32_e32 v1, 0x3400, v1
; %bb.5004:                             ;   in Loop: Header=BB0_7 Depth=1
	s_or_b32 exec_lo, exec_lo, s99
.LBB0_5005:                             ;   in Loop: Header=BB0_7 Depth=1
	s_and_not1_saveexec_b32 s98, s98
; %bb.5006:                             ;   in Loop: Header=BB0_7 Depth=1
	s_delay_alu instid0(VALU_DEP_1)
	v_or_b32_e32 v1, 0x3800, v1
; %bb.5007:                             ;   in Loop: Header=BB0_7 Depth=1
	s_or_b32 exec_lo, exec_lo, s98
.LBB0_5008:                             ;   in Loop: Header=BB0_7 Depth=1
	s_and_not1_saveexec_b32 s97, s97
; %bb.5009:                             ;   in Loop: Header=BB0_7 Depth=1
	s_delay_alu instid0(VALU_DEP_1)
	v_or_b32_e32 v1, 0x3c00, v1
; %bb.5010:                             ;   in Loop: Header=BB0_7 Depth=1
	s_or_b32 exec_lo, exec_lo, s97
.LBB0_5011:                             ;   in Loop: Header=BB0_7 Depth=1
	s_and_not1_saveexec_b32 s96, s96
; %bb.5012:                             ;   in Loop: Header=BB0_7 Depth=1
	s_delay_alu instid0(VALU_DEP_1)
	v_or_b32_e32 v1, 0x4000, v1
; %bb.5013:                             ;   in Loop: Header=BB0_7 Depth=1
	s_or_b32 exec_lo, exec_lo, s96
.LBB0_5014:                             ;   in Loop: Header=BB0_7 Depth=1
	s_and_not1_saveexec_b32 s95, s95
; %bb.5015:                             ;   in Loop: Header=BB0_7 Depth=1
	s_delay_alu instid0(VALU_DEP_1)
	v_or_b32_e32 v1, 0x4400, v1
; %bb.5016:                             ;   in Loop: Header=BB0_7 Depth=1
	s_or_b32 exec_lo, exec_lo, s95
.LBB0_5017:                             ;   in Loop: Header=BB0_7 Depth=1
	s_and_not1_saveexec_b32 s94, s94
; %bb.5018:                             ;   in Loop: Header=BB0_7 Depth=1
	s_delay_alu instid0(VALU_DEP_1)
	v_or_b32_e32 v1, 0x4800, v1
; %bb.5019:                             ;   in Loop: Header=BB0_7 Depth=1
	s_or_b32 exec_lo, exec_lo, s94
.LBB0_5020:                             ;   in Loop: Header=BB0_7 Depth=1
	s_and_not1_saveexec_b32 s93, s93
; %bb.5021:                             ;   in Loop: Header=BB0_7 Depth=1
	s_delay_alu instid0(VALU_DEP_1)
	v_or_b32_e32 v1, 0x4c00, v1
; %bb.5022:                             ;   in Loop: Header=BB0_7 Depth=1
	s_or_b32 exec_lo, exec_lo, s93
.LBB0_5023:                             ;   in Loop: Header=BB0_7 Depth=1
	s_and_not1_saveexec_b32 s92, s92
; %bb.5024:                             ;   in Loop: Header=BB0_7 Depth=1
	s_delay_alu instid0(VALU_DEP_1)
	v_or_b32_e32 v1, 0x5000, v1
; %bb.5025:                             ;   in Loop: Header=BB0_7 Depth=1
	s_or_b32 exec_lo, exec_lo, s92
.LBB0_5026:                             ;   in Loop: Header=BB0_7 Depth=1
	s_and_not1_saveexec_b32 s91, s91
; %bb.5027:                             ;   in Loop: Header=BB0_7 Depth=1
	s_delay_alu instid0(VALU_DEP_1)
	v_or_b32_e32 v1, 0x5400, v1
; %bb.5028:                             ;   in Loop: Header=BB0_7 Depth=1
	s_or_b32 exec_lo, exec_lo, s91
.LBB0_5029:                             ;   in Loop: Header=BB0_7 Depth=1
	s_and_not1_saveexec_b32 s90, s90
; %bb.5030:                             ;   in Loop: Header=BB0_7 Depth=1
	s_delay_alu instid0(VALU_DEP_1)
	v_or_b32_e32 v1, 0x5800, v1
; %bb.5031:                             ;   in Loop: Header=BB0_7 Depth=1
	s_or_b32 exec_lo, exec_lo, s90
.LBB0_5032:                             ;   in Loop: Header=BB0_7 Depth=1
	s_and_not1_saveexec_b32 s89, s89
; %bb.5033:                             ;   in Loop: Header=BB0_7 Depth=1
	s_delay_alu instid0(VALU_DEP_1)
	v_or_b32_e32 v1, 0x5c00, v1
; %bb.5034:                             ;   in Loop: Header=BB0_7 Depth=1
	s_or_b32 exec_lo, exec_lo, s89
.LBB0_5035:                             ;   in Loop: Header=BB0_7 Depth=1
	s_and_not1_saveexec_b32 s88, s88
; %bb.5036:                             ;   in Loop: Header=BB0_7 Depth=1
	s_delay_alu instid0(VALU_DEP_1)
	v_or_b32_e32 v1, 0x6000, v1
; %bb.5037:                             ;   in Loop: Header=BB0_7 Depth=1
	s_or_b32 exec_lo, exec_lo, s88
.LBB0_5038:                             ;   in Loop: Header=BB0_7 Depth=1
	s_and_not1_saveexec_b32 s87, s87
; %bb.5039:                             ;   in Loop: Header=BB0_7 Depth=1
	s_delay_alu instid0(VALU_DEP_1)
	v_or_b32_e32 v1, 0x6400, v1
; %bb.5040:                             ;   in Loop: Header=BB0_7 Depth=1
	s_or_b32 exec_lo, exec_lo, s87
.LBB0_5041:                             ;   in Loop: Header=BB0_7 Depth=1
	s_and_not1_saveexec_b32 s86, s86
; %bb.5042:                             ;   in Loop: Header=BB0_7 Depth=1
	s_delay_alu instid0(VALU_DEP_1)
	v_or_b32_e32 v1, 0x6800, v1
; %bb.5043:                             ;   in Loop: Header=BB0_7 Depth=1
	s_or_b32 exec_lo, exec_lo, s86
.LBB0_5044:                             ;   in Loop: Header=BB0_7 Depth=1
	s_and_not1_saveexec_b32 s85, s85
; %bb.5045:                             ;   in Loop: Header=BB0_7 Depth=1
	s_delay_alu instid0(VALU_DEP_1)
	v_or_b32_e32 v1, 0x6c00, v1
; %bb.5046:                             ;   in Loop: Header=BB0_7 Depth=1
	s_or_b32 exec_lo, exec_lo, s85
.LBB0_5047:                             ;   in Loop: Header=BB0_7 Depth=1
	s_and_not1_saveexec_b32 s84, s84
; %bb.5048:                             ;   in Loop: Header=BB0_7 Depth=1
	s_delay_alu instid0(VALU_DEP_1)
	v_or_b32_e32 v1, 0x7000, v1
; %bb.5049:                             ;   in Loop: Header=BB0_7 Depth=1
	s_or_b32 exec_lo, exec_lo, s84
.LBB0_5050:                             ;   in Loop: Header=BB0_7 Depth=1
	s_and_not1_saveexec_b32 s83, s83
; %bb.5051:                             ;   in Loop: Header=BB0_7 Depth=1
	s_delay_alu instid0(VALU_DEP_1)
	v_or_b32_e32 v1, 0x7400, v1
; %bb.5052:                             ;   in Loop: Header=BB0_7 Depth=1
	s_or_b32 exec_lo, exec_lo, s83
.LBB0_5053:                             ;   in Loop: Header=BB0_7 Depth=1
	s_and_not1_saveexec_b32 s82, s82
; %bb.5054:                             ;   in Loop: Header=BB0_7 Depth=1
	s_delay_alu instid0(VALU_DEP_1)
	v_or_b32_e32 v1, 0x7800, v1
; %bb.5055:                             ;   in Loop: Header=BB0_7 Depth=1
	s_or_b32 exec_lo, exec_lo, s82
.LBB0_5056:                             ;   in Loop: Header=BB0_7 Depth=1
	s_and_not1_saveexec_b32 s81, s81
; %bb.5057:                             ;   in Loop: Header=BB0_7 Depth=1
	s_delay_alu instid0(VALU_DEP_1)
	v_or_b32_e32 v1, 0x7c00, v1
; %bb.5058:                             ;   in Loop: Header=BB0_7 Depth=1
	s_or_b32 exec_lo, exec_lo, s81
.LBB0_5059:                             ;   in Loop: Header=BB0_7 Depth=1
	s_delay_alu instid0(SALU_CYCLE_1) | instskip(SKIP_1) | instid1(SALU_CYCLE_1)
	s_or_b32 exec_lo, exec_lo, s80
	s_or_b32 s80, s33, 46
	v_cmp_ge_u32_e32 vcc_lo, s80, v0
	s_and_saveexec_b32 s80, vcc_lo
	s_delay_alu instid0(SALU_CYCLE_1)
	s_xor_b32 s80, exec_lo, s80
; %bb.5060:                             ;   in Loop: Header=BB0_7 Depth=1
	v_add_nc_u32_e32 v1, 0x7c0000, v1
; %bb.5061:                             ;   in Loop: Header=BB0_7 Depth=1
	s_and_not1_saveexec_b32 s80, s80
	s_cbranch_execz .LBB0_5185
; %bb.5062:                             ;   in Loop: Header=BB0_7 Depth=1
	s_add_co_i32 s81, s62, 0
	s_delay_alu instid0(SALU_CYCLE_1)
	v_mov_b32_e32 v8, s81
	s_mov_b32 s81, exec_lo
	ds_load_2addr_b64 v[12:15], v8 offset0:138 offset1:139
	ds_load_b64 v[16:17], v8 offset:1120
	s_wait_dscnt 0x1
	v_mul_f64_e32 v[8:9], v[4:5], v[14:15]
	s_delay_alu instid0(VALU_DEP_1) | instskip(SKIP_1) | instid1(VALU_DEP_1)
	v_fmac_f64_e32 v[8:9], v[2:3], v[12:13]
	s_wait_dscnt 0x0
	v_fmac_f64_e32 v[8:9], v[6:7], v[16:17]
	s_delay_alu instid0(VALU_DEP_1)
	v_cmpx_ngt_f64_e32 s[60:61], v[8:9]
	s_xor_b32 s81, exec_lo, s81
	s_cbranch_execz .LBB0_5182
; %bb.5063:                             ;   in Loop: Header=BB0_7 Depth=1
	s_mov_b32 s82, exec_lo
	v_cmpx_ngt_f64_e32 s[66:67], v[8:9]
	s_xor_b32 s82, exec_lo, s82
	s_cbranch_execz .LBB0_5179
; %bb.5064:                             ;   in Loop: Header=BB0_7 Depth=1
	s_mov_b32 s83, exec_lo
	;; [unrolled: 5-line block ×21, first 2 shown]
	v_cmpx_ngt_f64_e32 s[18:19], v[8:9]
	s_xor_b32 s104, exec_lo, s104
	s_cbranch_execz .LBB0_5119
; %bb.5084:                             ;   in Loop: Header=BB0_7 Depth=1
	s_mov_b32 vcc_hi, exec_lo
	v_cmpx_ngt_f64_e32 s[16:17], v[8:9]
	s_xor_b32 vcc_hi, exec_lo, vcc_hi
	s_delay_alu instid0(SALU_CYCLE_1)
	v_writelane_b32 v18, vcc_hi, 0
	s_cbranch_execz .LBB0_5116
; %bb.5085:                             ;   in Loop: Header=BB0_7 Depth=1
	s_mov_b32 vcc_hi, exec_lo
	v_cmpx_ngt_f64_e32 s[50:51], v[8:9]
	s_xor_b32 vcc_hi, exec_lo, vcc_hi
	s_delay_alu instid0(SALU_CYCLE_1)
	v_writelane_b32 v18, vcc_hi, 1
	;; [unrolled: 7-line block ×8, first 2 shown]
	s_cbranch_execz .LBB0_5095
; %bb.5092:                             ;   in Loop: Header=BB0_7 Depth=1
	s_mov_b32 vcc_lo, exec_lo
	v_cmpx_gt_f64_e32 s[36:37], v[8:9]
; %bb.5093:                             ;   in Loop: Header=BB0_7 Depth=1
	v_add_nc_u32_e32 v1, 0x40000, v1
; %bb.5094:                             ;   in Loop: Header=BB0_7 Depth=1
	s_or_b32 exec_lo, exec_lo, vcc_lo
.LBB0_5095:                             ;   in Loop: Header=BB0_7 Depth=1
	s_delay_alu instid0(VALU_DEP_1)
	v_readlane_b32 vcc_lo, v18, 8
	s_and_not1_saveexec_b32 vcc_lo, vcc_lo
; %bb.5096:                             ;   in Loop: Header=BB0_7 Depth=1
	v_add_nc_u32_e32 v1, 0x80000, v1
; %bb.5097:                             ;   in Loop: Header=BB0_7 Depth=1
	s_or_b32 exec_lo, exec_lo, vcc_lo
.LBB0_5098:                             ;   in Loop: Header=BB0_7 Depth=1
	s_delay_alu instid0(VALU_DEP_1)
	v_readlane_b32 vcc_lo, v18, 6
	s_and_not1_saveexec_b32 vcc_lo, vcc_lo
; %bb.5099:                             ;   in Loop: Header=BB0_7 Depth=1
	v_add_nc_u32_e32 v1, 0xc0000, v1
; %bb.5100:                             ;   in Loop: Header=BB0_7 Depth=1
	s_or_b32 exec_lo, exec_lo, vcc_lo
.LBB0_5101:                             ;   in Loop: Header=BB0_7 Depth=1
	s_delay_alu instid0(VALU_DEP_1)
	v_readlane_b32 vcc_lo, v18, 5
	s_and_not1_saveexec_b32 vcc_lo, vcc_lo
; %bb.5102:                             ;   in Loop: Header=BB0_7 Depth=1
	v_add_nc_u32_e32 v1, 0x100000, v1
; %bb.5103:                             ;   in Loop: Header=BB0_7 Depth=1
	s_or_b32 exec_lo, exec_lo, vcc_lo
.LBB0_5104:                             ;   in Loop: Header=BB0_7 Depth=1
	s_delay_alu instid0(VALU_DEP_1)
	v_readlane_b32 vcc_lo, v18, 4
	s_and_not1_saveexec_b32 vcc_lo, vcc_lo
; %bb.5105:                             ;   in Loop: Header=BB0_7 Depth=1
	v_add_nc_u32_e32 v1, 0x140000, v1
; %bb.5106:                             ;   in Loop: Header=BB0_7 Depth=1
	s_or_b32 exec_lo, exec_lo, vcc_lo
.LBB0_5107:                             ;   in Loop: Header=BB0_7 Depth=1
	s_delay_alu instid0(VALU_DEP_1)
	v_readlane_b32 vcc_lo, v18, 3
	s_and_not1_saveexec_b32 vcc_lo, vcc_lo
; %bb.5108:                             ;   in Loop: Header=BB0_7 Depth=1
	v_add_nc_u32_e32 v1, 0x180000, v1
; %bb.5109:                             ;   in Loop: Header=BB0_7 Depth=1
	s_or_b32 exec_lo, exec_lo, vcc_lo
.LBB0_5110:                             ;   in Loop: Header=BB0_7 Depth=1
	s_delay_alu instid0(VALU_DEP_1)
	v_readlane_b32 vcc_lo, v18, 2
	s_and_not1_saveexec_b32 vcc_lo, vcc_lo
; %bb.5111:                             ;   in Loop: Header=BB0_7 Depth=1
	v_add_nc_u32_e32 v1, 0x1c0000, v1
; %bb.5112:                             ;   in Loop: Header=BB0_7 Depth=1
	s_or_b32 exec_lo, exec_lo, vcc_lo
.LBB0_5113:                             ;   in Loop: Header=BB0_7 Depth=1
	s_delay_alu instid0(VALU_DEP_1)
	v_readlane_b32 vcc_lo, v18, 1
	s_and_not1_saveexec_b32 vcc_lo, vcc_lo
; %bb.5114:                             ;   in Loop: Header=BB0_7 Depth=1
	v_add_nc_u32_e32 v1, 0x200000, v1
; %bb.5115:                             ;   in Loop: Header=BB0_7 Depth=1
	s_or_b32 exec_lo, exec_lo, vcc_lo
.LBB0_5116:                             ;   in Loop: Header=BB0_7 Depth=1
	s_delay_alu instid0(VALU_DEP_1)
	v_readlane_b32 vcc_lo, v18, 0
	s_and_not1_saveexec_b32 vcc_lo, vcc_lo
; %bb.5117:                             ;   in Loop: Header=BB0_7 Depth=1
	v_add_nc_u32_e32 v1, 0x240000, v1
; %bb.5118:                             ;   in Loop: Header=BB0_7 Depth=1
	s_or_b32 exec_lo, exec_lo, vcc_lo
.LBB0_5119:                             ;   in Loop: Header=BB0_7 Depth=1
	s_and_not1_saveexec_b32 s104, s104
; %bb.5120:                             ;   in Loop: Header=BB0_7 Depth=1
	s_delay_alu instid0(VALU_DEP_1)
	v_add_nc_u32_e32 v1, 0x280000, v1
; %bb.5121:                             ;   in Loop: Header=BB0_7 Depth=1
	s_or_b32 exec_lo, exec_lo, s104
.LBB0_5122:                             ;   in Loop: Header=BB0_7 Depth=1
	s_and_not1_saveexec_b32 s101, s101
; %bb.5123:                             ;   in Loop: Header=BB0_7 Depth=1
	s_delay_alu instid0(VALU_DEP_1)
	v_add_nc_u32_e32 v1, 0x2c0000, v1
; %bb.5124:                             ;   in Loop: Header=BB0_7 Depth=1
	s_or_b32 exec_lo, exec_lo, s101
.LBB0_5125:                             ;   in Loop: Header=BB0_7 Depth=1
	s_and_not1_saveexec_b32 s100, s100
; %bb.5126:                             ;   in Loop: Header=BB0_7 Depth=1
	s_delay_alu instid0(VALU_DEP_1)
	v_add_nc_u32_e32 v1, 0x300000, v1
; %bb.5127:                             ;   in Loop: Header=BB0_7 Depth=1
	s_or_b32 exec_lo, exec_lo, s100
.LBB0_5128:                             ;   in Loop: Header=BB0_7 Depth=1
	s_and_not1_saveexec_b32 s99, s99
; %bb.5129:                             ;   in Loop: Header=BB0_7 Depth=1
	s_delay_alu instid0(VALU_DEP_1)
	v_add_nc_u32_e32 v1, 0x340000, v1
; %bb.5130:                             ;   in Loop: Header=BB0_7 Depth=1
	s_or_b32 exec_lo, exec_lo, s99
.LBB0_5131:                             ;   in Loop: Header=BB0_7 Depth=1
	s_and_not1_saveexec_b32 s98, s98
; %bb.5132:                             ;   in Loop: Header=BB0_7 Depth=1
	s_delay_alu instid0(VALU_DEP_1)
	v_add_nc_u32_e32 v1, 0x380000, v1
; %bb.5133:                             ;   in Loop: Header=BB0_7 Depth=1
	s_or_b32 exec_lo, exec_lo, s98
.LBB0_5134:                             ;   in Loop: Header=BB0_7 Depth=1
	s_and_not1_saveexec_b32 s97, s97
; %bb.5135:                             ;   in Loop: Header=BB0_7 Depth=1
	s_delay_alu instid0(VALU_DEP_1)
	v_add_nc_u32_e32 v1, 0x3c0000, v1
; %bb.5136:                             ;   in Loop: Header=BB0_7 Depth=1
	s_or_b32 exec_lo, exec_lo, s97
.LBB0_5137:                             ;   in Loop: Header=BB0_7 Depth=1
	s_and_not1_saveexec_b32 s96, s96
; %bb.5138:                             ;   in Loop: Header=BB0_7 Depth=1
	s_delay_alu instid0(VALU_DEP_1)
	v_add_nc_u32_e32 v1, 0x400000, v1
; %bb.5139:                             ;   in Loop: Header=BB0_7 Depth=1
	s_or_b32 exec_lo, exec_lo, s96
.LBB0_5140:                             ;   in Loop: Header=BB0_7 Depth=1
	s_and_not1_saveexec_b32 s95, s95
; %bb.5141:                             ;   in Loop: Header=BB0_7 Depth=1
	s_delay_alu instid0(VALU_DEP_1)
	v_add_nc_u32_e32 v1, 0x440000, v1
; %bb.5142:                             ;   in Loop: Header=BB0_7 Depth=1
	s_or_b32 exec_lo, exec_lo, s95
.LBB0_5143:                             ;   in Loop: Header=BB0_7 Depth=1
	s_and_not1_saveexec_b32 s94, s94
; %bb.5144:                             ;   in Loop: Header=BB0_7 Depth=1
	s_delay_alu instid0(VALU_DEP_1)
	v_add_nc_u32_e32 v1, 0x480000, v1
; %bb.5145:                             ;   in Loop: Header=BB0_7 Depth=1
	s_or_b32 exec_lo, exec_lo, s94
.LBB0_5146:                             ;   in Loop: Header=BB0_7 Depth=1
	s_and_not1_saveexec_b32 s93, s93
; %bb.5147:                             ;   in Loop: Header=BB0_7 Depth=1
	s_delay_alu instid0(VALU_DEP_1)
	v_add_nc_u32_e32 v1, 0x4c0000, v1
; %bb.5148:                             ;   in Loop: Header=BB0_7 Depth=1
	s_or_b32 exec_lo, exec_lo, s93
.LBB0_5149:                             ;   in Loop: Header=BB0_7 Depth=1
	s_and_not1_saveexec_b32 s92, s92
; %bb.5150:                             ;   in Loop: Header=BB0_7 Depth=1
	s_delay_alu instid0(VALU_DEP_1)
	v_add_nc_u32_e32 v1, 0x500000, v1
; %bb.5151:                             ;   in Loop: Header=BB0_7 Depth=1
	s_or_b32 exec_lo, exec_lo, s92
.LBB0_5152:                             ;   in Loop: Header=BB0_7 Depth=1
	s_and_not1_saveexec_b32 s91, s91
; %bb.5153:                             ;   in Loop: Header=BB0_7 Depth=1
	s_delay_alu instid0(VALU_DEP_1)
	v_add_nc_u32_e32 v1, 0x540000, v1
; %bb.5154:                             ;   in Loop: Header=BB0_7 Depth=1
	s_or_b32 exec_lo, exec_lo, s91
.LBB0_5155:                             ;   in Loop: Header=BB0_7 Depth=1
	s_and_not1_saveexec_b32 s90, s90
; %bb.5156:                             ;   in Loop: Header=BB0_7 Depth=1
	s_delay_alu instid0(VALU_DEP_1)
	v_add_nc_u32_e32 v1, 0x580000, v1
; %bb.5157:                             ;   in Loop: Header=BB0_7 Depth=1
	s_or_b32 exec_lo, exec_lo, s90
.LBB0_5158:                             ;   in Loop: Header=BB0_7 Depth=1
	s_and_not1_saveexec_b32 s89, s89
; %bb.5159:                             ;   in Loop: Header=BB0_7 Depth=1
	s_delay_alu instid0(VALU_DEP_1)
	v_add_nc_u32_e32 v1, 0x5c0000, v1
; %bb.5160:                             ;   in Loop: Header=BB0_7 Depth=1
	s_or_b32 exec_lo, exec_lo, s89
.LBB0_5161:                             ;   in Loop: Header=BB0_7 Depth=1
	s_and_not1_saveexec_b32 s88, s88
; %bb.5162:                             ;   in Loop: Header=BB0_7 Depth=1
	s_delay_alu instid0(VALU_DEP_1)
	v_add_nc_u32_e32 v1, 0x600000, v1
; %bb.5163:                             ;   in Loop: Header=BB0_7 Depth=1
	s_or_b32 exec_lo, exec_lo, s88
.LBB0_5164:                             ;   in Loop: Header=BB0_7 Depth=1
	s_and_not1_saveexec_b32 s87, s87
; %bb.5165:                             ;   in Loop: Header=BB0_7 Depth=1
	s_delay_alu instid0(VALU_DEP_1)
	v_add_nc_u32_e32 v1, 0x640000, v1
; %bb.5166:                             ;   in Loop: Header=BB0_7 Depth=1
	s_or_b32 exec_lo, exec_lo, s87
.LBB0_5167:                             ;   in Loop: Header=BB0_7 Depth=1
	s_and_not1_saveexec_b32 s86, s86
; %bb.5168:                             ;   in Loop: Header=BB0_7 Depth=1
	s_delay_alu instid0(VALU_DEP_1)
	v_add_nc_u32_e32 v1, 0x680000, v1
; %bb.5169:                             ;   in Loop: Header=BB0_7 Depth=1
	s_or_b32 exec_lo, exec_lo, s86
.LBB0_5170:                             ;   in Loop: Header=BB0_7 Depth=1
	s_and_not1_saveexec_b32 s85, s85
; %bb.5171:                             ;   in Loop: Header=BB0_7 Depth=1
	s_delay_alu instid0(VALU_DEP_1)
	v_add_nc_u32_e32 v1, 0x6c0000, v1
; %bb.5172:                             ;   in Loop: Header=BB0_7 Depth=1
	s_or_b32 exec_lo, exec_lo, s85
.LBB0_5173:                             ;   in Loop: Header=BB0_7 Depth=1
	s_and_not1_saveexec_b32 s84, s84
; %bb.5174:                             ;   in Loop: Header=BB0_7 Depth=1
	s_delay_alu instid0(VALU_DEP_1)
	v_add_nc_u32_e32 v1, 0x700000, v1
; %bb.5175:                             ;   in Loop: Header=BB0_7 Depth=1
	s_or_b32 exec_lo, exec_lo, s84
.LBB0_5176:                             ;   in Loop: Header=BB0_7 Depth=1
	s_and_not1_saveexec_b32 s83, s83
; %bb.5177:                             ;   in Loop: Header=BB0_7 Depth=1
	s_delay_alu instid0(VALU_DEP_1)
	v_add_nc_u32_e32 v1, 0x740000, v1
; %bb.5178:                             ;   in Loop: Header=BB0_7 Depth=1
	s_or_b32 exec_lo, exec_lo, s83
.LBB0_5179:                             ;   in Loop: Header=BB0_7 Depth=1
	s_and_not1_saveexec_b32 s82, s82
; %bb.5180:                             ;   in Loop: Header=BB0_7 Depth=1
	s_delay_alu instid0(VALU_DEP_1)
	v_add_nc_u32_e32 v1, 0x780000, v1
; %bb.5181:                             ;   in Loop: Header=BB0_7 Depth=1
	s_or_b32 exec_lo, exec_lo, s82
.LBB0_5182:                             ;   in Loop: Header=BB0_7 Depth=1
	s_and_not1_saveexec_b32 s81, s81
; %bb.5183:                             ;   in Loop: Header=BB0_7 Depth=1
	s_delay_alu instid0(VALU_DEP_1)
	v_add_nc_u32_e32 v1, 0x7c0000, v1
; %bb.5184:                             ;   in Loop: Header=BB0_7 Depth=1
	s_or_b32 exec_lo, exec_lo, s81
.LBB0_5185:                             ;   in Loop: Header=BB0_7 Depth=1
	s_delay_alu instid0(SALU_CYCLE_1) | instskip(SKIP_1) | instid1(SALU_CYCLE_1)
	s_or_b32 exec_lo, exec_lo, s80
	s_or_b32 s80, s33, 47
	v_cmp_ge_u32_e32 vcc_lo, s80, v0
	s_and_saveexec_b32 s80, vcc_lo
	s_delay_alu instid0(SALU_CYCLE_1)
	s_xor_b32 s80, exec_lo, s80
; %bb.5186:                             ;   in Loop: Header=BB0_7 Depth=1
	v_add_nc_u32_e32 v1, 0x7c000000, v1
; %bb.5187:                             ;   in Loop: Header=BB0_7 Depth=1
	s_and_not1_saveexec_b32 s80, s80
	s_cbranch_execz .LBB0_5311
; %bb.5188:                             ;   in Loop: Header=BB0_7 Depth=1
	s_add_co_i32 s81, s62, 0
	s_delay_alu instid0(SALU_CYCLE_1)
	v_mov_b32_e32 v8, s81
	s_mov_b32 s81, exec_lo
	ds_load_2addr_b64 v[12:15], v8 offset0:141 offset1:142
	ds_load_b64 v[16:17], v8 offset:1144
	s_wait_dscnt 0x1
	v_mul_f64_e32 v[8:9], v[4:5], v[14:15]
	s_delay_alu instid0(VALU_DEP_1) | instskip(SKIP_1) | instid1(VALU_DEP_1)
	v_fmac_f64_e32 v[8:9], v[2:3], v[12:13]
	s_wait_dscnt 0x0
	v_fmac_f64_e32 v[8:9], v[6:7], v[16:17]
	s_delay_alu instid0(VALU_DEP_1)
	v_cmpx_ngt_f64_e32 s[60:61], v[8:9]
	s_xor_b32 s81, exec_lo, s81
	s_cbranch_execz .LBB0_5308
; %bb.5189:                             ;   in Loop: Header=BB0_7 Depth=1
	s_mov_b32 s82, exec_lo
	v_cmpx_ngt_f64_e32 s[66:67], v[8:9]
	s_xor_b32 s82, exec_lo, s82
	s_cbranch_execz .LBB0_5305
; %bb.5190:                             ;   in Loop: Header=BB0_7 Depth=1
	s_mov_b32 s83, exec_lo
	v_cmpx_ngt_f64_e32 s[64:65], v[8:9]
	s_xor_b32 s83, exec_lo, s83
	s_cbranch_execz .LBB0_5302
; %bb.5191:                             ;   in Loop: Header=BB0_7 Depth=1
	s_mov_b32 s84, exec_lo
	v_cmpx_ngt_f64_e32 s[58:59], v[8:9]
	s_xor_b32 s84, exec_lo, s84
	s_cbranch_execz .LBB0_5299
; %bb.5192:                             ;   in Loop: Header=BB0_7 Depth=1
	s_mov_b32 s85, exec_lo
	v_cmpx_ngt_f64_e32 s[56:57], v[8:9]
	s_xor_b32 s85, exec_lo, s85
	s_cbranch_execz .LBB0_5296
; %bb.5193:                             ;   in Loop: Header=BB0_7 Depth=1
	s_mov_b32 s86, exec_lo
	v_cmpx_ngt_f64_e32 s[54:55], v[8:9]
	s_xor_b32 s86, exec_lo, s86
	s_cbranch_execz .LBB0_5293
; %bb.5194:                             ;   in Loop: Header=BB0_7 Depth=1
	s_mov_b32 s87, exec_lo
	v_cmpx_ngt_f64_e32 s[52:53], v[8:9]
	s_xor_b32 s87, exec_lo, s87
	s_cbranch_execz .LBB0_5290
; %bb.5195:                             ;   in Loop: Header=BB0_7 Depth=1
	s_mov_b32 s88, exec_lo
	v_cmpx_ngt_f64_e32 s[14:15], v[8:9]
	s_xor_b32 s88, exec_lo, s88
	s_cbranch_execz .LBB0_5287
; %bb.5196:                             ;   in Loop: Header=BB0_7 Depth=1
	s_mov_b32 s89, exec_lo
	v_cmpx_ngt_f64_e32 s[12:13], v[8:9]
	s_xor_b32 s89, exec_lo, s89
	s_cbranch_execz .LBB0_5284
; %bb.5197:                             ;   in Loop: Header=BB0_7 Depth=1
	s_mov_b32 s90, exec_lo
	v_cmpx_ngt_f64_e32 s[10:11], v[8:9]
	s_xor_b32 s90, exec_lo, s90
	s_cbranch_execz .LBB0_5281
; %bb.5198:                             ;   in Loop: Header=BB0_7 Depth=1
	s_mov_b32 s91, exec_lo
	v_cmpx_ngt_f64_e32 s[8:9], v[8:9]
	s_xor_b32 s91, exec_lo, s91
	s_cbranch_execz .LBB0_5278
; %bb.5199:                             ;   in Loop: Header=BB0_7 Depth=1
	s_mov_b32 s92, exec_lo
	v_cmpx_ngt_f64_e32 s[6:7], v[8:9]
	s_xor_b32 s92, exec_lo, s92
	s_cbranch_execz .LBB0_5275
; %bb.5200:                             ;   in Loop: Header=BB0_7 Depth=1
	s_mov_b32 s93, exec_lo
	v_cmpx_ngt_f64_e32 s[4:5], v[8:9]
	s_xor_b32 s93, exec_lo, s93
	s_cbranch_execz .LBB0_5272
; %bb.5201:                             ;   in Loop: Header=BB0_7 Depth=1
	s_mov_b32 s94, exec_lo
	v_cmpx_ngt_f64_e32 s[2:3], v[8:9]
	s_xor_b32 s94, exec_lo, s94
	s_cbranch_execz .LBB0_5269
; %bb.5202:                             ;   in Loop: Header=BB0_7 Depth=1
	s_mov_b32 s95, exec_lo
	v_cmpx_ngt_f64_e32 s[0:1], v[8:9]
	s_xor_b32 s95, exec_lo, s95
	s_cbranch_execz .LBB0_5266
; %bb.5203:                             ;   in Loop: Header=BB0_7 Depth=1
	s_mov_b32 s96, exec_lo
	v_cmpx_ngt_f64_e32 s[30:31], v[8:9]
	s_xor_b32 s96, exec_lo, s96
	s_cbranch_execz .LBB0_5263
; %bb.5204:                             ;   in Loop: Header=BB0_7 Depth=1
	s_mov_b32 s97, exec_lo
	v_cmpx_ngt_f64_e32 s[28:29], v[8:9]
	s_xor_b32 s97, exec_lo, s97
	s_cbranch_execz .LBB0_5260
; %bb.5205:                             ;   in Loop: Header=BB0_7 Depth=1
	s_mov_b32 s98, exec_lo
	v_cmpx_ngt_f64_e32 s[26:27], v[8:9]
	s_xor_b32 s98, exec_lo, s98
	s_cbranch_execz .LBB0_5257
; %bb.5206:                             ;   in Loop: Header=BB0_7 Depth=1
	s_mov_b32 s99, exec_lo
	v_cmpx_ngt_f64_e32 s[24:25], v[8:9]
	s_xor_b32 s99, exec_lo, s99
	s_cbranch_execz .LBB0_5254
; %bb.5207:                             ;   in Loop: Header=BB0_7 Depth=1
	s_mov_b32 s100, exec_lo
	v_cmpx_ngt_f64_e32 s[22:23], v[8:9]
	s_xor_b32 s100, exec_lo, s100
	s_cbranch_execz .LBB0_5251
; %bb.5208:                             ;   in Loop: Header=BB0_7 Depth=1
	s_mov_b32 s101, exec_lo
	v_cmpx_ngt_f64_e32 s[20:21], v[8:9]
	s_xor_b32 s101, exec_lo, s101
	s_cbranch_execz .LBB0_5248
; %bb.5209:                             ;   in Loop: Header=BB0_7 Depth=1
	s_mov_b32 s104, exec_lo
	v_cmpx_ngt_f64_e32 s[18:19], v[8:9]
	s_xor_b32 s104, exec_lo, s104
	s_cbranch_execz .LBB0_5245
; %bb.5210:                             ;   in Loop: Header=BB0_7 Depth=1
	s_mov_b32 vcc_hi, exec_lo
	v_cmpx_ngt_f64_e32 s[16:17], v[8:9]
	s_xor_b32 vcc_hi, exec_lo, vcc_hi
	s_delay_alu instid0(SALU_CYCLE_1)
	v_writelane_b32 v18, vcc_hi, 0
	s_cbranch_execz .LBB0_5242
; %bb.5211:                             ;   in Loop: Header=BB0_7 Depth=1
	s_mov_b32 vcc_hi, exec_lo
	v_cmpx_ngt_f64_e32 s[50:51], v[8:9]
	s_xor_b32 vcc_hi, exec_lo, vcc_hi
	s_delay_alu instid0(SALU_CYCLE_1)
	v_writelane_b32 v18, vcc_hi, 1
	;; [unrolled: 7-line block ×8, first 2 shown]
	s_cbranch_execz .LBB0_5221
; %bb.5218:                             ;   in Loop: Header=BB0_7 Depth=1
	s_mov_b32 vcc_lo, exec_lo
	v_cmpx_gt_f64_e32 s[36:37], v[8:9]
; %bb.5219:                             ;   in Loop: Header=BB0_7 Depth=1
	v_add_nc_u32_e32 v1, 0x4000000, v1
; %bb.5220:                             ;   in Loop: Header=BB0_7 Depth=1
	s_or_b32 exec_lo, exec_lo, vcc_lo
.LBB0_5221:                             ;   in Loop: Header=BB0_7 Depth=1
	s_delay_alu instid0(VALU_DEP_1)
	v_readlane_b32 vcc_lo, v18, 8
	s_and_not1_saveexec_b32 vcc_lo, vcc_lo
; %bb.5222:                             ;   in Loop: Header=BB0_7 Depth=1
	v_add_nc_u32_e32 v1, 0x8000000, v1
; %bb.5223:                             ;   in Loop: Header=BB0_7 Depth=1
	s_or_b32 exec_lo, exec_lo, vcc_lo
.LBB0_5224:                             ;   in Loop: Header=BB0_7 Depth=1
	s_delay_alu instid0(VALU_DEP_1)
	v_readlane_b32 vcc_lo, v18, 6
	s_and_not1_saveexec_b32 vcc_lo, vcc_lo
; %bb.5225:                             ;   in Loop: Header=BB0_7 Depth=1
	v_add_nc_u32_e32 v1, 0xc000000, v1
; %bb.5226:                             ;   in Loop: Header=BB0_7 Depth=1
	s_or_b32 exec_lo, exec_lo, vcc_lo
.LBB0_5227:                             ;   in Loop: Header=BB0_7 Depth=1
	s_delay_alu instid0(VALU_DEP_1)
	v_readlane_b32 vcc_lo, v18, 5
	s_and_not1_saveexec_b32 vcc_lo, vcc_lo
; %bb.5228:                             ;   in Loop: Header=BB0_7 Depth=1
	v_add_nc_u32_e32 v1, 0x10000000, v1
; %bb.5229:                             ;   in Loop: Header=BB0_7 Depth=1
	s_or_b32 exec_lo, exec_lo, vcc_lo
.LBB0_5230:                             ;   in Loop: Header=BB0_7 Depth=1
	s_delay_alu instid0(VALU_DEP_1)
	v_readlane_b32 vcc_lo, v18, 4
	s_and_not1_saveexec_b32 vcc_lo, vcc_lo
; %bb.5231:                             ;   in Loop: Header=BB0_7 Depth=1
	v_add_nc_u32_e32 v1, 0x14000000, v1
; %bb.5232:                             ;   in Loop: Header=BB0_7 Depth=1
	s_or_b32 exec_lo, exec_lo, vcc_lo
.LBB0_5233:                             ;   in Loop: Header=BB0_7 Depth=1
	s_delay_alu instid0(VALU_DEP_1)
	v_readlane_b32 vcc_lo, v18, 3
	s_and_not1_saveexec_b32 vcc_lo, vcc_lo
; %bb.5234:                             ;   in Loop: Header=BB0_7 Depth=1
	v_add_nc_u32_e32 v1, 0x18000000, v1
; %bb.5235:                             ;   in Loop: Header=BB0_7 Depth=1
	s_or_b32 exec_lo, exec_lo, vcc_lo
.LBB0_5236:                             ;   in Loop: Header=BB0_7 Depth=1
	s_delay_alu instid0(VALU_DEP_1)
	v_readlane_b32 vcc_lo, v18, 2
	s_and_not1_saveexec_b32 vcc_lo, vcc_lo
; %bb.5237:                             ;   in Loop: Header=BB0_7 Depth=1
	v_add_nc_u32_e32 v1, 0x1c000000, v1
; %bb.5238:                             ;   in Loop: Header=BB0_7 Depth=1
	s_or_b32 exec_lo, exec_lo, vcc_lo
.LBB0_5239:                             ;   in Loop: Header=BB0_7 Depth=1
	s_delay_alu instid0(VALU_DEP_1)
	v_readlane_b32 vcc_lo, v18, 1
	s_and_not1_saveexec_b32 vcc_lo, vcc_lo
; %bb.5240:                             ;   in Loop: Header=BB0_7 Depth=1
	v_add_nc_u32_e32 v1, 0x20000000, v1
; %bb.5241:                             ;   in Loop: Header=BB0_7 Depth=1
	s_or_b32 exec_lo, exec_lo, vcc_lo
.LBB0_5242:                             ;   in Loop: Header=BB0_7 Depth=1
	s_delay_alu instid0(VALU_DEP_1)
	v_readlane_b32 vcc_lo, v18, 0
	s_and_not1_saveexec_b32 vcc_lo, vcc_lo
; %bb.5243:                             ;   in Loop: Header=BB0_7 Depth=1
	v_add_nc_u32_e32 v1, 0x24000000, v1
; %bb.5244:                             ;   in Loop: Header=BB0_7 Depth=1
	s_or_b32 exec_lo, exec_lo, vcc_lo
.LBB0_5245:                             ;   in Loop: Header=BB0_7 Depth=1
	s_and_not1_saveexec_b32 s104, s104
; %bb.5246:                             ;   in Loop: Header=BB0_7 Depth=1
	s_delay_alu instid0(VALU_DEP_1)
	v_add_nc_u32_e32 v1, 0x28000000, v1
; %bb.5247:                             ;   in Loop: Header=BB0_7 Depth=1
	s_or_b32 exec_lo, exec_lo, s104
.LBB0_5248:                             ;   in Loop: Header=BB0_7 Depth=1
	s_and_not1_saveexec_b32 s101, s101
; %bb.5249:                             ;   in Loop: Header=BB0_7 Depth=1
	s_delay_alu instid0(VALU_DEP_1)
	v_add_nc_u32_e32 v1, 0x2c000000, v1
; %bb.5250:                             ;   in Loop: Header=BB0_7 Depth=1
	s_or_b32 exec_lo, exec_lo, s101
.LBB0_5251:                             ;   in Loop: Header=BB0_7 Depth=1
	s_and_not1_saveexec_b32 s100, s100
; %bb.5252:                             ;   in Loop: Header=BB0_7 Depth=1
	s_delay_alu instid0(VALU_DEP_1)
	v_add_nc_u32_e32 v1, 0x30000000, v1
; %bb.5253:                             ;   in Loop: Header=BB0_7 Depth=1
	s_or_b32 exec_lo, exec_lo, s100
.LBB0_5254:                             ;   in Loop: Header=BB0_7 Depth=1
	s_and_not1_saveexec_b32 s99, s99
; %bb.5255:                             ;   in Loop: Header=BB0_7 Depth=1
	s_delay_alu instid0(VALU_DEP_1)
	v_add_nc_u32_e32 v1, 0x34000000, v1
; %bb.5256:                             ;   in Loop: Header=BB0_7 Depth=1
	s_or_b32 exec_lo, exec_lo, s99
.LBB0_5257:                             ;   in Loop: Header=BB0_7 Depth=1
	s_and_not1_saveexec_b32 s98, s98
; %bb.5258:                             ;   in Loop: Header=BB0_7 Depth=1
	s_delay_alu instid0(VALU_DEP_1)
	v_add_nc_u32_e32 v1, 0x38000000, v1
; %bb.5259:                             ;   in Loop: Header=BB0_7 Depth=1
	s_or_b32 exec_lo, exec_lo, s98
.LBB0_5260:                             ;   in Loop: Header=BB0_7 Depth=1
	s_and_not1_saveexec_b32 s97, s97
; %bb.5261:                             ;   in Loop: Header=BB0_7 Depth=1
	s_delay_alu instid0(VALU_DEP_1)
	v_add_nc_u32_e32 v1, 0x3c000000, v1
; %bb.5262:                             ;   in Loop: Header=BB0_7 Depth=1
	s_or_b32 exec_lo, exec_lo, s97
.LBB0_5263:                             ;   in Loop: Header=BB0_7 Depth=1
	s_and_not1_saveexec_b32 s96, s96
; %bb.5264:                             ;   in Loop: Header=BB0_7 Depth=1
	s_delay_alu instid0(VALU_DEP_1)
	v_add_nc_u32_e32 v1, 2.0, v1
; %bb.5265:                             ;   in Loop: Header=BB0_7 Depth=1
	s_or_b32 exec_lo, exec_lo, s96
.LBB0_5266:                             ;   in Loop: Header=BB0_7 Depth=1
	s_and_not1_saveexec_b32 s95, s95
; %bb.5267:                             ;   in Loop: Header=BB0_7 Depth=1
	s_delay_alu instid0(VALU_DEP_1)
	v_add_nc_u32_e32 v1, 0x44000000, v1
; %bb.5268:                             ;   in Loop: Header=BB0_7 Depth=1
	s_or_b32 exec_lo, exec_lo, s95
.LBB0_5269:                             ;   in Loop: Header=BB0_7 Depth=1
	s_and_not1_saveexec_b32 s94, s94
; %bb.5270:                             ;   in Loop: Header=BB0_7 Depth=1
	s_delay_alu instid0(VALU_DEP_1)
	v_add_nc_u32_e32 v1, 0x48000000, v1
; %bb.5271:                             ;   in Loop: Header=BB0_7 Depth=1
	s_or_b32 exec_lo, exec_lo, s94
.LBB0_5272:                             ;   in Loop: Header=BB0_7 Depth=1
	s_and_not1_saveexec_b32 s93, s93
; %bb.5273:                             ;   in Loop: Header=BB0_7 Depth=1
	s_delay_alu instid0(VALU_DEP_1)
	v_add_nc_u32_e32 v1, 0x4c000000, v1
; %bb.5274:                             ;   in Loop: Header=BB0_7 Depth=1
	s_or_b32 exec_lo, exec_lo, s93
.LBB0_5275:                             ;   in Loop: Header=BB0_7 Depth=1
	s_and_not1_saveexec_b32 s92, s92
; %bb.5276:                             ;   in Loop: Header=BB0_7 Depth=1
	s_delay_alu instid0(VALU_DEP_1)
	v_add_nc_u32_e32 v1, 0x50000000, v1
; %bb.5277:                             ;   in Loop: Header=BB0_7 Depth=1
	s_or_b32 exec_lo, exec_lo, s92
.LBB0_5278:                             ;   in Loop: Header=BB0_7 Depth=1
	s_and_not1_saveexec_b32 s91, s91
; %bb.5279:                             ;   in Loop: Header=BB0_7 Depth=1
	s_delay_alu instid0(VALU_DEP_1)
	v_add_nc_u32_e32 v1, 0x54000000, v1
; %bb.5280:                             ;   in Loop: Header=BB0_7 Depth=1
	s_or_b32 exec_lo, exec_lo, s91
.LBB0_5281:                             ;   in Loop: Header=BB0_7 Depth=1
	s_and_not1_saveexec_b32 s90, s90
; %bb.5282:                             ;   in Loop: Header=BB0_7 Depth=1
	s_delay_alu instid0(VALU_DEP_1)
	v_add_nc_u32_e32 v1, 0x58000000, v1
; %bb.5283:                             ;   in Loop: Header=BB0_7 Depth=1
	s_or_b32 exec_lo, exec_lo, s90
.LBB0_5284:                             ;   in Loop: Header=BB0_7 Depth=1
	s_and_not1_saveexec_b32 s89, s89
; %bb.5285:                             ;   in Loop: Header=BB0_7 Depth=1
	s_delay_alu instid0(VALU_DEP_1)
	v_add_nc_u32_e32 v1, 0x5c000000, v1
; %bb.5286:                             ;   in Loop: Header=BB0_7 Depth=1
	s_or_b32 exec_lo, exec_lo, s89
.LBB0_5287:                             ;   in Loop: Header=BB0_7 Depth=1
	s_and_not1_saveexec_b32 s88, s88
; %bb.5288:                             ;   in Loop: Header=BB0_7 Depth=1
	s_delay_alu instid0(VALU_DEP_1)
	v_add_nc_u32_e32 v1, 0x60000000, v1
; %bb.5289:                             ;   in Loop: Header=BB0_7 Depth=1
	s_or_b32 exec_lo, exec_lo, s88
.LBB0_5290:                             ;   in Loop: Header=BB0_7 Depth=1
	s_and_not1_saveexec_b32 s87, s87
; %bb.5291:                             ;   in Loop: Header=BB0_7 Depth=1
	s_delay_alu instid0(VALU_DEP_1)
	v_add_nc_u32_e32 v1, 0x64000000, v1
; %bb.5292:                             ;   in Loop: Header=BB0_7 Depth=1
	s_or_b32 exec_lo, exec_lo, s87
.LBB0_5293:                             ;   in Loop: Header=BB0_7 Depth=1
	s_and_not1_saveexec_b32 s86, s86
; %bb.5294:                             ;   in Loop: Header=BB0_7 Depth=1
	s_delay_alu instid0(VALU_DEP_1)
	v_add_nc_u32_e32 v1, 0x68000000, v1
; %bb.5295:                             ;   in Loop: Header=BB0_7 Depth=1
	s_or_b32 exec_lo, exec_lo, s86
.LBB0_5296:                             ;   in Loop: Header=BB0_7 Depth=1
	s_and_not1_saveexec_b32 s85, s85
; %bb.5297:                             ;   in Loop: Header=BB0_7 Depth=1
	s_delay_alu instid0(VALU_DEP_1)
	v_add_nc_u32_e32 v1, 0x6c000000, v1
; %bb.5298:                             ;   in Loop: Header=BB0_7 Depth=1
	s_or_b32 exec_lo, exec_lo, s85
.LBB0_5299:                             ;   in Loop: Header=BB0_7 Depth=1
	s_and_not1_saveexec_b32 s84, s84
; %bb.5300:                             ;   in Loop: Header=BB0_7 Depth=1
	s_delay_alu instid0(VALU_DEP_1)
	v_add_nc_u32_e32 v1, 0x70000000, v1
; %bb.5301:                             ;   in Loop: Header=BB0_7 Depth=1
	s_or_b32 exec_lo, exec_lo, s84
.LBB0_5302:                             ;   in Loop: Header=BB0_7 Depth=1
	s_and_not1_saveexec_b32 s83, s83
; %bb.5303:                             ;   in Loop: Header=BB0_7 Depth=1
	s_delay_alu instid0(VALU_DEP_1)
	v_add_nc_u32_e32 v1, 0x74000000, v1
; %bb.5304:                             ;   in Loop: Header=BB0_7 Depth=1
	s_or_b32 exec_lo, exec_lo, s83
.LBB0_5305:                             ;   in Loop: Header=BB0_7 Depth=1
	s_and_not1_saveexec_b32 s82, s82
; %bb.5306:                             ;   in Loop: Header=BB0_7 Depth=1
	s_delay_alu instid0(VALU_DEP_1)
	v_add_nc_u32_e32 v1, 0x78000000, v1
; %bb.5307:                             ;   in Loop: Header=BB0_7 Depth=1
	s_or_b32 exec_lo, exec_lo, s82
.LBB0_5308:                             ;   in Loop: Header=BB0_7 Depth=1
	s_and_not1_saveexec_b32 s81, s81
; %bb.5309:                             ;   in Loop: Header=BB0_7 Depth=1
	s_delay_alu instid0(VALU_DEP_1)
	v_add_nc_u32_e32 v1, 0x7c000000, v1
; %bb.5310:                             ;   in Loop: Header=BB0_7 Depth=1
	s_or_b32 exec_lo, exec_lo, s81
.LBB0_5311:                             ;   in Loop: Header=BB0_7 Depth=1
	s_delay_alu instid0(SALU_CYCLE_1)
	s_or_b32 exec_lo, exec_lo, s80
	v_lshl_add_u32 v8, s63, 12, v10
	v_mov_b32_e32 v11, 0x7c
	s_or_b32 s80, s33, 48
	s_mov_b32 s63, exec_lo
	global_store_b32 v8, v1, s[34:35] scale_offset
	s_wait_xcnt 0x0
	v_cmpx_lt_u32_e64 s80, v0
	s_cbranch_execz .LBB0_5375
; %bb.5312:                             ;   in Loop: Header=BB0_7 Depth=1
	s_add_co_i32 s81, s62, 0
	v_mov_b32_e32 v11, 0x7c
	v_mov_b32_e32 v1, s81
	s_mov_b32 s81, exec_lo
	ds_load_2addr_b64 v[12:15], v1 offset0:144 offset1:145
	ds_load_b64 v[16:17], v1 offset:1168
	s_wait_dscnt 0x1
	v_mul_f64_e32 v[8:9], v[4:5], v[14:15]
	s_delay_alu instid0(VALU_DEP_1) | instskip(SKIP_1) | instid1(VALU_DEP_1)
	v_fmac_f64_e32 v[8:9], v[2:3], v[12:13]
	s_wait_dscnt 0x0
	v_fmac_f64_e32 v[8:9], v[6:7], v[16:17]
	s_delay_alu instid0(VALU_DEP_1)
	v_cmpx_ngt_f64_e32 s[60:61], v[8:9]
	s_cbranch_execz .LBB0_5374
; %bb.5313:                             ;   in Loop: Header=BB0_7 Depth=1
	v_mov_b32_e32 v11, 0x78
	s_mov_b32 s82, exec_lo
	v_cmpx_ngt_f64_e32 s[66:67], v[8:9]
	s_cbranch_execz .LBB0_5373
; %bb.5314:                             ;   in Loop: Header=BB0_7 Depth=1
	v_mov_b32_e32 v11, 0x74
	s_mov_b32 s83, exec_lo
	;; [unrolled: 5-line block ×21, first 2 shown]
	v_cmpx_ngt_f64_e32 s[18:19], v[8:9]
	s_cbranch_execz .LBB0_5353
; %bb.5334:                             ;   in Loop: Header=BB0_7 Depth=1
	v_mov_b32_e32 v11, 36
	v_cmp_ngt_f64_e32 vcc_lo, s[16:17], v[8:9]
	s_mov_b32 vcc_hi, exec_lo
	s_delay_alu instid0(SALU_CYCLE_1)
	s_and_b32 vcc_lo, vcc_hi, vcc_lo
	v_writelane_b32 v18, vcc_hi, 0
	s_mov_b32 exec_lo, vcc_lo
	s_cbranch_execz .LBB0_5352
; %bb.5335:                             ;   in Loop: Header=BB0_7 Depth=1
	v_mov_b32_e32 v11, 32
	v_cmp_ngt_f64_e32 vcc_lo, s[50:51], v[8:9]
	s_mov_b32 vcc_hi, exec_lo
	s_delay_alu instid0(SALU_CYCLE_1)
	s_and_b32 vcc_lo, vcc_hi, vcc_lo
	v_writelane_b32 v18, vcc_hi, 1
	s_mov_b32 exec_lo, vcc_lo
	;; [unrolled: 9-line block ×8, first 2 shown]
	s_cbranch_execz .LBB0_5345
; %bb.5342:                             ;   in Loop: Header=BB0_7 Depth=1
	v_mov_b32_e32 v11, 0
	s_mov_b32 vcc_hi, exec_lo
	v_cmpx_gt_f64_e32 s[36:37], v[8:9]
; %bb.5343:                             ;   in Loop: Header=BB0_7 Depth=1
	v_mov_b32_e32 v11, 4
; %bb.5344:                             ;   in Loop: Header=BB0_7 Depth=1
	s_or_b32 exec_lo, exec_lo, vcc_hi
.LBB0_5345:                             ;   in Loop: Header=BB0_7 Depth=1
	s_delay_alu instid0(VALU_DEP_1)
	v_readlane_b32 vcc_lo, v18, 8
	s_or_b32 exec_lo, exec_lo, vcc_lo
.LBB0_5346:                             ;   in Loop: Header=BB0_7 Depth=1
	s_delay_alu instid0(VALU_DEP_1)
	v_readlane_b32 vcc_lo, v18, 6
	s_or_b32 exec_lo, exec_lo, vcc_lo
.LBB0_5347:                             ;   in Loop: Header=BB0_7 Depth=1
	s_delay_alu instid0(VALU_DEP_1)
	v_readlane_b32 vcc_lo, v18, 5
	s_or_b32 exec_lo, exec_lo, vcc_lo
.LBB0_5348:                             ;   in Loop: Header=BB0_7 Depth=1
	s_delay_alu instid0(VALU_DEP_1)
	v_readlane_b32 vcc_lo, v18, 4
	s_or_b32 exec_lo, exec_lo, vcc_lo
.LBB0_5349:                             ;   in Loop: Header=BB0_7 Depth=1
	s_delay_alu instid0(VALU_DEP_1)
	v_readlane_b32 vcc_lo, v18, 3
	s_or_b32 exec_lo, exec_lo, vcc_lo
.LBB0_5350:                             ;   in Loop: Header=BB0_7 Depth=1
	s_delay_alu instid0(VALU_DEP_1)
	v_readlane_b32 vcc_lo, v18, 2
	s_or_b32 exec_lo, exec_lo, vcc_lo
.LBB0_5351:                             ;   in Loop: Header=BB0_7 Depth=1
	s_delay_alu instid0(VALU_DEP_1)
	v_readlane_b32 vcc_lo, v18, 1
	s_or_b32 exec_lo, exec_lo, vcc_lo
.LBB0_5352:                             ;   in Loop: Header=BB0_7 Depth=1
	s_delay_alu instid0(VALU_DEP_1)
	v_readlane_b32 vcc_lo, v18, 0
	s_or_b32 exec_lo, exec_lo, vcc_lo
.LBB0_5353:                             ;   in Loop: Header=BB0_7 Depth=1
	s_delay_alu instid0(SALU_CYCLE_1)
	s_or_b32 exec_lo, exec_lo, s104
.LBB0_5354:                             ;   in Loop: Header=BB0_7 Depth=1
	s_delay_alu instid0(SALU_CYCLE_1)
	s_or_b32 exec_lo, exec_lo, s101
.LBB0_5355:                             ;   in Loop: Header=BB0_7 Depth=1
	s_delay_alu instid0(SALU_CYCLE_1)
	s_or_b32 exec_lo, exec_lo, s100
.LBB0_5356:                             ;   in Loop: Header=BB0_7 Depth=1
	s_delay_alu instid0(SALU_CYCLE_1)
	s_or_b32 exec_lo, exec_lo, s99
.LBB0_5357:                             ;   in Loop: Header=BB0_7 Depth=1
	s_delay_alu instid0(SALU_CYCLE_1)
	s_or_b32 exec_lo, exec_lo, s98
.LBB0_5358:                             ;   in Loop: Header=BB0_7 Depth=1
	s_delay_alu instid0(SALU_CYCLE_1)
	s_or_b32 exec_lo, exec_lo, s97
.LBB0_5359:                             ;   in Loop: Header=BB0_7 Depth=1
	s_delay_alu instid0(SALU_CYCLE_1)
	s_or_b32 exec_lo, exec_lo, s96
.LBB0_5360:                             ;   in Loop: Header=BB0_7 Depth=1
	s_delay_alu instid0(SALU_CYCLE_1)
	s_or_b32 exec_lo, exec_lo, s95
.LBB0_5361:                             ;   in Loop: Header=BB0_7 Depth=1
	s_delay_alu instid0(SALU_CYCLE_1)
	s_or_b32 exec_lo, exec_lo, s94
.LBB0_5362:                             ;   in Loop: Header=BB0_7 Depth=1
	s_delay_alu instid0(SALU_CYCLE_1)
	s_or_b32 exec_lo, exec_lo, s93
.LBB0_5363:                             ;   in Loop: Header=BB0_7 Depth=1
	s_delay_alu instid0(SALU_CYCLE_1)
	s_or_b32 exec_lo, exec_lo, s92
.LBB0_5364:                             ;   in Loop: Header=BB0_7 Depth=1
	s_delay_alu instid0(SALU_CYCLE_1)
	s_or_b32 exec_lo, exec_lo, s91
.LBB0_5365:                             ;   in Loop: Header=BB0_7 Depth=1
	s_delay_alu instid0(SALU_CYCLE_1)
	s_or_b32 exec_lo, exec_lo, s90
.LBB0_5366:                             ;   in Loop: Header=BB0_7 Depth=1
	s_delay_alu instid0(SALU_CYCLE_1)
	s_or_b32 exec_lo, exec_lo, s89
.LBB0_5367:                             ;   in Loop: Header=BB0_7 Depth=1
	s_delay_alu instid0(SALU_CYCLE_1)
	s_or_b32 exec_lo, exec_lo, s88
.LBB0_5368:                             ;   in Loop: Header=BB0_7 Depth=1
	s_delay_alu instid0(SALU_CYCLE_1)
	s_or_b32 exec_lo, exec_lo, s87
.LBB0_5369:                             ;   in Loop: Header=BB0_7 Depth=1
	s_delay_alu instid0(SALU_CYCLE_1)
	s_or_b32 exec_lo, exec_lo, s86
.LBB0_5370:                             ;   in Loop: Header=BB0_7 Depth=1
	s_delay_alu instid0(SALU_CYCLE_1)
	s_or_b32 exec_lo, exec_lo, s85
.LBB0_5371:                             ;   in Loop: Header=BB0_7 Depth=1
	s_delay_alu instid0(SALU_CYCLE_1)
	s_or_b32 exec_lo, exec_lo, s84
.LBB0_5372:                             ;   in Loop: Header=BB0_7 Depth=1
	s_delay_alu instid0(SALU_CYCLE_1)
	s_or_b32 exec_lo, exec_lo, s83
.LBB0_5373:                             ;   in Loop: Header=BB0_7 Depth=1
	s_delay_alu instid0(SALU_CYCLE_1)
	s_or_b32 exec_lo, exec_lo, s82
.LBB0_5374:                             ;   in Loop: Header=BB0_7 Depth=1
	s_delay_alu instid0(SALU_CYCLE_1)
	s_or_b32 exec_lo, exec_lo, s81
.LBB0_5375:                             ;   in Loop: Header=BB0_7 Depth=1
	s_delay_alu instid0(SALU_CYCLE_1) | instskip(SKIP_1) | instid1(SALU_CYCLE_1)
	s_or_b32 exec_lo, exec_lo, s63
	s_or_b32 s63, s33, 49
	v_cmp_ge_u32_e32 vcc_lo, s63, v0
	s_and_saveexec_b32 s63, vcc_lo
	s_delay_alu instid0(SALU_CYCLE_1)
	s_xor_b32 s63, exec_lo, s63
; %bb.5376:                             ;   in Loop: Header=BB0_7 Depth=1
	v_or_b32_e32 v11, 0x7c00, v11
; %bb.5377:                             ;   in Loop: Header=BB0_7 Depth=1
	s_and_not1_saveexec_b32 s63, s63
	s_cbranch_execz .LBB0_5501
; %bb.5378:                             ;   in Loop: Header=BB0_7 Depth=1
	s_add_co_i32 s81, s62, 0
	s_delay_alu instid0(SALU_CYCLE_1)
	v_mov_b32_e32 v1, s81
	s_mov_b32 s81, exec_lo
	ds_load_2addr_b64 v[12:15], v1 offset0:147 offset1:148
	ds_load_b64 v[16:17], v1 offset:1192
	s_wait_dscnt 0x1
	v_mul_f64_e32 v[8:9], v[4:5], v[14:15]
	s_delay_alu instid0(VALU_DEP_1) | instskip(SKIP_1) | instid1(VALU_DEP_1)
	v_fmac_f64_e32 v[8:9], v[2:3], v[12:13]
	s_wait_dscnt 0x0
	v_fmac_f64_e32 v[8:9], v[6:7], v[16:17]
	s_delay_alu instid0(VALU_DEP_1)
	v_cmpx_ngt_f64_e32 s[60:61], v[8:9]
	s_xor_b32 s81, exec_lo, s81
	s_cbranch_execz .LBB0_5498
; %bb.5379:                             ;   in Loop: Header=BB0_7 Depth=1
	s_mov_b32 s82, exec_lo
	v_cmpx_ngt_f64_e32 s[66:67], v[8:9]
	s_xor_b32 s82, exec_lo, s82
	s_cbranch_execz .LBB0_5495
; %bb.5380:                             ;   in Loop: Header=BB0_7 Depth=1
	s_mov_b32 s83, exec_lo
	;; [unrolled: 5-line block ×21, first 2 shown]
	v_cmpx_ngt_f64_e32 s[18:19], v[8:9]
	s_xor_b32 s104, exec_lo, s104
	s_cbranch_execz .LBB0_5435
; %bb.5400:                             ;   in Loop: Header=BB0_7 Depth=1
	s_mov_b32 vcc_hi, exec_lo
	v_cmpx_ngt_f64_e32 s[16:17], v[8:9]
	s_xor_b32 vcc_hi, exec_lo, vcc_hi
	s_delay_alu instid0(SALU_CYCLE_1)
	v_writelane_b32 v18, vcc_hi, 0
	s_cbranch_execz .LBB0_5432
; %bb.5401:                             ;   in Loop: Header=BB0_7 Depth=1
	s_mov_b32 vcc_hi, exec_lo
	v_cmpx_ngt_f64_e32 s[50:51], v[8:9]
	s_xor_b32 vcc_hi, exec_lo, vcc_hi
	s_delay_alu instid0(SALU_CYCLE_1)
	v_writelane_b32 v18, vcc_hi, 1
	s_cbranch_execz .LBB0_5429
; %bb.5402:                             ;   in Loop: Header=BB0_7 Depth=1
	s_mov_b32 vcc_hi, exec_lo
	v_cmpx_ngt_f64_e32 s[48:49], v[8:9]
	s_xor_b32 vcc_hi, exec_lo, vcc_hi
	s_delay_alu instid0(SALU_CYCLE_1)
	v_writelane_b32 v18, vcc_hi, 2
	s_cbranch_execz .LBB0_5426
; %bb.5403:                             ;   in Loop: Header=BB0_7 Depth=1
	s_mov_b32 vcc_hi, exec_lo
	v_cmpx_ngt_f64_e32 s[46:47], v[8:9]
	s_xor_b32 vcc_hi, exec_lo, vcc_hi
	s_delay_alu instid0(SALU_CYCLE_1)
	v_writelane_b32 v18, vcc_hi, 3
	s_cbranch_execz .LBB0_5423
; %bb.5404:                             ;   in Loop: Header=BB0_7 Depth=1
	s_mov_b32 vcc_hi, exec_lo
	v_cmpx_ngt_f64_e32 s[44:45], v[8:9]
	s_xor_b32 vcc_hi, exec_lo, vcc_hi
	s_delay_alu instid0(SALU_CYCLE_1)
	v_writelane_b32 v18, vcc_hi, 4
	s_cbranch_execz .LBB0_5420
; %bb.5405:                             ;   in Loop: Header=BB0_7 Depth=1
	s_mov_b32 vcc_hi, exec_lo
	v_cmpx_ngt_f64_e32 s[42:43], v[8:9]
	s_xor_b32 vcc_hi, exec_lo, vcc_hi
	s_delay_alu instid0(SALU_CYCLE_1)
	v_writelane_b32 v18, vcc_hi, 5
	s_cbranch_execz .LBB0_5417
; %bb.5406:                             ;   in Loop: Header=BB0_7 Depth=1
	s_mov_b32 vcc_hi, exec_lo
	v_cmpx_ngt_f64_e32 s[40:41], v[8:9]
	s_xor_b32 vcc_hi, exec_lo, vcc_hi
	s_delay_alu instid0(SALU_CYCLE_1)
	v_writelane_b32 v18, vcc_hi, 6
	s_cbranch_execz .LBB0_5414
; %bb.5407:                             ;   in Loop: Header=BB0_7 Depth=1
	s_mov_b32 vcc_hi, exec_lo
	v_cmpx_ngt_f64_e32 s[38:39], v[8:9]
	s_xor_b32 vcc_hi, exec_lo, vcc_hi
	s_delay_alu instid0(SALU_CYCLE_1)
	v_writelane_b32 v18, vcc_hi, 8
	s_cbranch_execz .LBB0_5411
; %bb.5408:                             ;   in Loop: Header=BB0_7 Depth=1
	s_mov_b32 vcc_lo, exec_lo
	v_cmpx_gt_f64_e32 s[36:37], v[8:9]
; %bb.5409:                             ;   in Loop: Header=BB0_7 Depth=1
	v_or_b32_e32 v11, 0x400, v11
; %bb.5410:                             ;   in Loop: Header=BB0_7 Depth=1
	s_or_b32 exec_lo, exec_lo, vcc_lo
.LBB0_5411:                             ;   in Loop: Header=BB0_7 Depth=1
	s_delay_alu instid0(VALU_DEP_1)
	v_readlane_b32 vcc_lo, v18, 8
	s_and_not1_saveexec_b32 vcc_lo, vcc_lo
; %bb.5412:                             ;   in Loop: Header=BB0_7 Depth=1
	v_or_b32_e32 v11, 0x800, v11
; %bb.5413:                             ;   in Loop: Header=BB0_7 Depth=1
	s_or_b32 exec_lo, exec_lo, vcc_lo
.LBB0_5414:                             ;   in Loop: Header=BB0_7 Depth=1
	s_delay_alu instid0(VALU_DEP_1)
	v_readlane_b32 vcc_lo, v18, 6
	s_and_not1_saveexec_b32 vcc_lo, vcc_lo
; %bb.5415:                             ;   in Loop: Header=BB0_7 Depth=1
	v_or_b32_e32 v11, 0xc00, v11
; %bb.5416:                             ;   in Loop: Header=BB0_7 Depth=1
	s_or_b32 exec_lo, exec_lo, vcc_lo
.LBB0_5417:                             ;   in Loop: Header=BB0_7 Depth=1
	s_delay_alu instid0(VALU_DEP_1)
	v_readlane_b32 vcc_lo, v18, 5
	s_and_not1_saveexec_b32 vcc_lo, vcc_lo
; %bb.5418:                             ;   in Loop: Header=BB0_7 Depth=1
	v_or_b32_e32 v11, 0x1000, v11
; %bb.5419:                             ;   in Loop: Header=BB0_7 Depth=1
	s_or_b32 exec_lo, exec_lo, vcc_lo
.LBB0_5420:                             ;   in Loop: Header=BB0_7 Depth=1
	s_delay_alu instid0(VALU_DEP_1)
	v_readlane_b32 vcc_lo, v18, 4
	s_and_not1_saveexec_b32 vcc_lo, vcc_lo
; %bb.5421:                             ;   in Loop: Header=BB0_7 Depth=1
	v_or_b32_e32 v11, 0x1400, v11
; %bb.5422:                             ;   in Loop: Header=BB0_7 Depth=1
	s_or_b32 exec_lo, exec_lo, vcc_lo
.LBB0_5423:                             ;   in Loop: Header=BB0_7 Depth=1
	s_delay_alu instid0(VALU_DEP_1)
	v_readlane_b32 vcc_lo, v18, 3
	s_and_not1_saveexec_b32 vcc_lo, vcc_lo
; %bb.5424:                             ;   in Loop: Header=BB0_7 Depth=1
	v_or_b32_e32 v11, 0x1800, v11
; %bb.5425:                             ;   in Loop: Header=BB0_7 Depth=1
	s_or_b32 exec_lo, exec_lo, vcc_lo
.LBB0_5426:                             ;   in Loop: Header=BB0_7 Depth=1
	s_delay_alu instid0(VALU_DEP_1)
	v_readlane_b32 vcc_lo, v18, 2
	s_and_not1_saveexec_b32 vcc_lo, vcc_lo
; %bb.5427:                             ;   in Loop: Header=BB0_7 Depth=1
	v_or_b32_e32 v11, 0x1c00, v11
; %bb.5428:                             ;   in Loop: Header=BB0_7 Depth=1
	s_or_b32 exec_lo, exec_lo, vcc_lo
.LBB0_5429:                             ;   in Loop: Header=BB0_7 Depth=1
	s_delay_alu instid0(VALU_DEP_1)
	v_readlane_b32 vcc_lo, v18, 1
	s_and_not1_saveexec_b32 vcc_lo, vcc_lo
; %bb.5430:                             ;   in Loop: Header=BB0_7 Depth=1
	v_or_b32_e32 v11, 0x2000, v11
; %bb.5431:                             ;   in Loop: Header=BB0_7 Depth=1
	s_or_b32 exec_lo, exec_lo, vcc_lo
.LBB0_5432:                             ;   in Loop: Header=BB0_7 Depth=1
	s_delay_alu instid0(VALU_DEP_1)
	v_readlane_b32 vcc_lo, v18, 0
	s_and_not1_saveexec_b32 vcc_lo, vcc_lo
; %bb.5433:                             ;   in Loop: Header=BB0_7 Depth=1
	v_or_b32_e32 v11, 0x2400, v11
; %bb.5434:                             ;   in Loop: Header=BB0_7 Depth=1
	s_or_b32 exec_lo, exec_lo, vcc_lo
.LBB0_5435:                             ;   in Loop: Header=BB0_7 Depth=1
	s_and_not1_saveexec_b32 s104, s104
; %bb.5436:                             ;   in Loop: Header=BB0_7 Depth=1
	s_delay_alu instid0(VALU_DEP_1)
	v_or_b32_e32 v11, 0x2800, v11
; %bb.5437:                             ;   in Loop: Header=BB0_7 Depth=1
	s_or_b32 exec_lo, exec_lo, s104
.LBB0_5438:                             ;   in Loop: Header=BB0_7 Depth=1
	s_and_not1_saveexec_b32 s101, s101
; %bb.5439:                             ;   in Loop: Header=BB0_7 Depth=1
	s_delay_alu instid0(VALU_DEP_1)
	v_or_b32_e32 v11, 0x2c00, v11
; %bb.5440:                             ;   in Loop: Header=BB0_7 Depth=1
	s_or_b32 exec_lo, exec_lo, s101
.LBB0_5441:                             ;   in Loop: Header=BB0_7 Depth=1
	s_and_not1_saveexec_b32 s100, s100
; %bb.5442:                             ;   in Loop: Header=BB0_7 Depth=1
	s_delay_alu instid0(VALU_DEP_1)
	v_or_b32_e32 v11, 0x3000, v11
; %bb.5443:                             ;   in Loop: Header=BB0_7 Depth=1
	s_or_b32 exec_lo, exec_lo, s100
.LBB0_5444:                             ;   in Loop: Header=BB0_7 Depth=1
	s_and_not1_saveexec_b32 s99, s99
; %bb.5445:                             ;   in Loop: Header=BB0_7 Depth=1
	s_delay_alu instid0(VALU_DEP_1)
	v_or_b32_e32 v11, 0x3400, v11
; %bb.5446:                             ;   in Loop: Header=BB0_7 Depth=1
	s_or_b32 exec_lo, exec_lo, s99
.LBB0_5447:                             ;   in Loop: Header=BB0_7 Depth=1
	s_and_not1_saveexec_b32 s98, s98
; %bb.5448:                             ;   in Loop: Header=BB0_7 Depth=1
	s_delay_alu instid0(VALU_DEP_1)
	v_or_b32_e32 v11, 0x3800, v11
; %bb.5449:                             ;   in Loop: Header=BB0_7 Depth=1
	s_or_b32 exec_lo, exec_lo, s98
.LBB0_5450:                             ;   in Loop: Header=BB0_7 Depth=1
	s_and_not1_saveexec_b32 s97, s97
; %bb.5451:                             ;   in Loop: Header=BB0_7 Depth=1
	s_delay_alu instid0(VALU_DEP_1)
	v_or_b32_e32 v11, 0x3c00, v11
; %bb.5452:                             ;   in Loop: Header=BB0_7 Depth=1
	s_or_b32 exec_lo, exec_lo, s97
.LBB0_5453:                             ;   in Loop: Header=BB0_7 Depth=1
	s_and_not1_saveexec_b32 s96, s96
; %bb.5454:                             ;   in Loop: Header=BB0_7 Depth=1
	s_delay_alu instid0(VALU_DEP_1)
	v_or_b32_e32 v11, 0x4000, v11
; %bb.5455:                             ;   in Loop: Header=BB0_7 Depth=1
	s_or_b32 exec_lo, exec_lo, s96
.LBB0_5456:                             ;   in Loop: Header=BB0_7 Depth=1
	s_and_not1_saveexec_b32 s95, s95
; %bb.5457:                             ;   in Loop: Header=BB0_7 Depth=1
	s_delay_alu instid0(VALU_DEP_1)
	v_or_b32_e32 v11, 0x4400, v11
; %bb.5458:                             ;   in Loop: Header=BB0_7 Depth=1
	s_or_b32 exec_lo, exec_lo, s95
.LBB0_5459:                             ;   in Loop: Header=BB0_7 Depth=1
	s_and_not1_saveexec_b32 s94, s94
; %bb.5460:                             ;   in Loop: Header=BB0_7 Depth=1
	s_delay_alu instid0(VALU_DEP_1)
	v_or_b32_e32 v11, 0x4800, v11
; %bb.5461:                             ;   in Loop: Header=BB0_7 Depth=1
	s_or_b32 exec_lo, exec_lo, s94
.LBB0_5462:                             ;   in Loop: Header=BB0_7 Depth=1
	s_and_not1_saveexec_b32 s93, s93
; %bb.5463:                             ;   in Loop: Header=BB0_7 Depth=1
	s_delay_alu instid0(VALU_DEP_1)
	v_or_b32_e32 v11, 0x4c00, v11
; %bb.5464:                             ;   in Loop: Header=BB0_7 Depth=1
	s_or_b32 exec_lo, exec_lo, s93
.LBB0_5465:                             ;   in Loop: Header=BB0_7 Depth=1
	s_and_not1_saveexec_b32 s92, s92
; %bb.5466:                             ;   in Loop: Header=BB0_7 Depth=1
	s_delay_alu instid0(VALU_DEP_1)
	v_or_b32_e32 v11, 0x5000, v11
; %bb.5467:                             ;   in Loop: Header=BB0_7 Depth=1
	s_or_b32 exec_lo, exec_lo, s92
.LBB0_5468:                             ;   in Loop: Header=BB0_7 Depth=1
	s_and_not1_saveexec_b32 s91, s91
; %bb.5469:                             ;   in Loop: Header=BB0_7 Depth=1
	s_delay_alu instid0(VALU_DEP_1)
	v_or_b32_e32 v11, 0x5400, v11
; %bb.5470:                             ;   in Loop: Header=BB0_7 Depth=1
	s_or_b32 exec_lo, exec_lo, s91
.LBB0_5471:                             ;   in Loop: Header=BB0_7 Depth=1
	s_and_not1_saveexec_b32 s90, s90
; %bb.5472:                             ;   in Loop: Header=BB0_7 Depth=1
	s_delay_alu instid0(VALU_DEP_1)
	v_or_b32_e32 v11, 0x5800, v11
; %bb.5473:                             ;   in Loop: Header=BB0_7 Depth=1
	s_or_b32 exec_lo, exec_lo, s90
.LBB0_5474:                             ;   in Loop: Header=BB0_7 Depth=1
	s_and_not1_saveexec_b32 s89, s89
; %bb.5475:                             ;   in Loop: Header=BB0_7 Depth=1
	s_delay_alu instid0(VALU_DEP_1)
	v_or_b32_e32 v11, 0x5c00, v11
; %bb.5476:                             ;   in Loop: Header=BB0_7 Depth=1
	s_or_b32 exec_lo, exec_lo, s89
.LBB0_5477:                             ;   in Loop: Header=BB0_7 Depth=1
	s_and_not1_saveexec_b32 s88, s88
; %bb.5478:                             ;   in Loop: Header=BB0_7 Depth=1
	s_delay_alu instid0(VALU_DEP_1)
	v_or_b32_e32 v11, 0x6000, v11
; %bb.5479:                             ;   in Loop: Header=BB0_7 Depth=1
	s_or_b32 exec_lo, exec_lo, s88
.LBB0_5480:                             ;   in Loop: Header=BB0_7 Depth=1
	s_and_not1_saveexec_b32 s87, s87
; %bb.5481:                             ;   in Loop: Header=BB0_7 Depth=1
	s_delay_alu instid0(VALU_DEP_1)
	v_or_b32_e32 v11, 0x6400, v11
; %bb.5482:                             ;   in Loop: Header=BB0_7 Depth=1
	s_or_b32 exec_lo, exec_lo, s87
.LBB0_5483:                             ;   in Loop: Header=BB0_7 Depth=1
	s_and_not1_saveexec_b32 s86, s86
; %bb.5484:                             ;   in Loop: Header=BB0_7 Depth=1
	s_delay_alu instid0(VALU_DEP_1)
	v_or_b32_e32 v11, 0x6800, v11
; %bb.5485:                             ;   in Loop: Header=BB0_7 Depth=1
	s_or_b32 exec_lo, exec_lo, s86
.LBB0_5486:                             ;   in Loop: Header=BB0_7 Depth=1
	s_and_not1_saveexec_b32 s85, s85
; %bb.5487:                             ;   in Loop: Header=BB0_7 Depth=1
	s_delay_alu instid0(VALU_DEP_1)
	v_or_b32_e32 v11, 0x6c00, v11
; %bb.5488:                             ;   in Loop: Header=BB0_7 Depth=1
	s_or_b32 exec_lo, exec_lo, s85
.LBB0_5489:                             ;   in Loop: Header=BB0_7 Depth=1
	s_and_not1_saveexec_b32 s84, s84
; %bb.5490:                             ;   in Loop: Header=BB0_7 Depth=1
	s_delay_alu instid0(VALU_DEP_1)
	v_or_b32_e32 v11, 0x7000, v11
; %bb.5491:                             ;   in Loop: Header=BB0_7 Depth=1
	s_or_b32 exec_lo, exec_lo, s84
.LBB0_5492:                             ;   in Loop: Header=BB0_7 Depth=1
	s_and_not1_saveexec_b32 s83, s83
; %bb.5493:                             ;   in Loop: Header=BB0_7 Depth=1
	s_delay_alu instid0(VALU_DEP_1)
	v_or_b32_e32 v11, 0x7400, v11
; %bb.5494:                             ;   in Loop: Header=BB0_7 Depth=1
	s_or_b32 exec_lo, exec_lo, s83
.LBB0_5495:                             ;   in Loop: Header=BB0_7 Depth=1
	s_and_not1_saveexec_b32 s82, s82
; %bb.5496:                             ;   in Loop: Header=BB0_7 Depth=1
	s_delay_alu instid0(VALU_DEP_1)
	v_or_b32_e32 v11, 0x7800, v11
; %bb.5497:                             ;   in Loop: Header=BB0_7 Depth=1
	s_or_b32 exec_lo, exec_lo, s82
.LBB0_5498:                             ;   in Loop: Header=BB0_7 Depth=1
	s_and_not1_saveexec_b32 s81, s81
; %bb.5499:                             ;   in Loop: Header=BB0_7 Depth=1
	s_delay_alu instid0(VALU_DEP_1)
	v_or_b32_e32 v11, 0x7c00, v11
; %bb.5500:                             ;   in Loop: Header=BB0_7 Depth=1
	s_or_b32 exec_lo, exec_lo, s81
.LBB0_5501:                             ;   in Loop: Header=BB0_7 Depth=1
	s_delay_alu instid0(SALU_CYCLE_1) | instskip(SKIP_1) | instid1(SALU_CYCLE_1)
	s_or_b32 exec_lo, exec_lo, s63
	s_or_b32 s63, s33, 50
	v_cmp_ge_u32_e32 vcc_lo, s63, v0
	s_and_saveexec_b32 s63, vcc_lo
	s_delay_alu instid0(SALU_CYCLE_1)
	s_xor_b32 s63, exec_lo, s63
; %bb.5502:                             ;   in Loop: Header=BB0_7 Depth=1
	v_add_nc_u32_e32 v11, 0x7c0000, v11
; %bb.5503:                             ;   in Loop: Header=BB0_7 Depth=1
	s_and_not1_saveexec_b32 s63, s63
	s_cbranch_execz .LBB0_5627
; %bb.5504:                             ;   in Loop: Header=BB0_7 Depth=1
	s_add_co_i32 s81, s62, 0
	s_delay_alu instid0(SALU_CYCLE_1)
	v_mov_b32_e32 v1, s81
	s_mov_b32 s81, exec_lo
	ds_load_2addr_b64 v[12:15], v1 offset0:150 offset1:151
	ds_load_b64 v[16:17], v1 offset:1216
	s_wait_dscnt 0x1
	v_mul_f64_e32 v[8:9], v[4:5], v[14:15]
	s_delay_alu instid0(VALU_DEP_1) | instskip(SKIP_1) | instid1(VALU_DEP_1)
	v_fmac_f64_e32 v[8:9], v[2:3], v[12:13]
	s_wait_dscnt 0x0
	v_fmac_f64_e32 v[8:9], v[6:7], v[16:17]
	s_delay_alu instid0(VALU_DEP_1)
	v_cmpx_ngt_f64_e32 s[60:61], v[8:9]
	s_xor_b32 s81, exec_lo, s81
	s_cbranch_execz .LBB0_5624
; %bb.5505:                             ;   in Loop: Header=BB0_7 Depth=1
	s_mov_b32 s82, exec_lo
	v_cmpx_ngt_f64_e32 s[66:67], v[8:9]
	s_xor_b32 s82, exec_lo, s82
	s_cbranch_execz .LBB0_5621
; %bb.5506:                             ;   in Loop: Header=BB0_7 Depth=1
	s_mov_b32 s83, exec_lo
	;; [unrolled: 5-line block ×21, first 2 shown]
	v_cmpx_ngt_f64_e32 s[18:19], v[8:9]
	s_xor_b32 s104, exec_lo, s104
	s_cbranch_execz .LBB0_5561
; %bb.5526:                             ;   in Loop: Header=BB0_7 Depth=1
	s_mov_b32 vcc_hi, exec_lo
	v_cmpx_ngt_f64_e32 s[16:17], v[8:9]
	s_xor_b32 vcc_hi, exec_lo, vcc_hi
	s_delay_alu instid0(SALU_CYCLE_1)
	v_writelane_b32 v18, vcc_hi, 0
	s_cbranch_execz .LBB0_5558
; %bb.5527:                             ;   in Loop: Header=BB0_7 Depth=1
	s_mov_b32 vcc_hi, exec_lo
	v_cmpx_ngt_f64_e32 s[50:51], v[8:9]
	s_xor_b32 vcc_hi, exec_lo, vcc_hi
	s_delay_alu instid0(SALU_CYCLE_1)
	v_writelane_b32 v18, vcc_hi, 1
	s_cbranch_execz .LBB0_5555
; %bb.5528:                             ;   in Loop: Header=BB0_7 Depth=1
	s_mov_b32 vcc_hi, exec_lo
	v_cmpx_ngt_f64_e32 s[48:49], v[8:9]
	s_xor_b32 vcc_hi, exec_lo, vcc_hi
	s_delay_alu instid0(SALU_CYCLE_1)
	v_writelane_b32 v18, vcc_hi, 2
	s_cbranch_execz .LBB0_5552
; %bb.5529:                             ;   in Loop: Header=BB0_7 Depth=1
	s_mov_b32 vcc_hi, exec_lo
	v_cmpx_ngt_f64_e32 s[46:47], v[8:9]
	s_xor_b32 vcc_hi, exec_lo, vcc_hi
	s_delay_alu instid0(SALU_CYCLE_1)
	v_writelane_b32 v18, vcc_hi, 3
	s_cbranch_execz .LBB0_5549
; %bb.5530:                             ;   in Loop: Header=BB0_7 Depth=1
	s_mov_b32 vcc_hi, exec_lo
	v_cmpx_ngt_f64_e32 s[44:45], v[8:9]
	s_xor_b32 vcc_hi, exec_lo, vcc_hi
	s_delay_alu instid0(SALU_CYCLE_1)
	v_writelane_b32 v18, vcc_hi, 4
	s_cbranch_execz .LBB0_5546
; %bb.5531:                             ;   in Loop: Header=BB0_7 Depth=1
	s_mov_b32 vcc_hi, exec_lo
	v_cmpx_ngt_f64_e32 s[42:43], v[8:9]
	s_xor_b32 vcc_hi, exec_lo, vcc_hi
	s_delay_alu instid0(SALU_CYCLE_1)
	v_writelane_b32 v18, vcc_hi, 5
	s_cbranch_execz .LBB0_5543
; %bb.5532:                             ;   in Loop: Header=BB0_7 Depth=1
	s_mov_b32 vcc_hi, exec_lo
	v_cmpx_ngt_f64_e32 s[40:41], v[8:9]
	s_xor_b32 vcc_hi, exec_lo, vcc_hi
	s_delay_alu instid0(SALU_CYCLE_1)
	v_writelane_b32 v18, vcc_hi, 6
	s_cbranch_execz .LBB0_5540
; %bb.5533:                             ;   in Loop: Header=BB0_7 Depth=1
	s_mov_b32 vcc_hi, exec_lo
	v_cmpx_ngt_f64_e32 s[38:39], v[8:9]
	s_xor_b32 vcc_hi, exec_lo, vcc_hi
	s_delay_alu instid0(SALU_CYCLE_1)
	v_writelane_b32 v18, vcc_hi, 8
	s_cbranch_execz .LBB0_5537
; %bb.5534:                             ;   in Loop: Header=BB0_7 Depth=1
	s_mov_b32 vcc_lo, exec_lo
	v_cmpx_gt_f64_e32 s[36:37], v[8:9]
; %bb.5535:                             ;   in Loop: Header=BB0_7 Depth=1
	v_add_nc_u32_e32 v11, 0x40000, v11
; %bb.5536:                             ;   in Loop: Header=BB0_7 Depth=1
	s_or_b32 exec_lo, exec_lo, vcc_lo
.LBB0_5537:                             ;   in Loop: Header=BB0_7 Depth=1
	s_delay_alu instid0(VALU_DEP_1)
	v_readlane_b32 vcc_lo, v18, 8
	s_and_not1_saveexec_b32 vcc_lo, vcc_lo
; %bb.5538:                             ;   in Loop: Header=BB0_7 Depth=1
	v_add_nc_u32_e32 v11, 0x80000, v11
; %bb.5539:                             ;   in Loop: Header=BB0_7 Depth=1
	s_or_b32 exec_lo, exec_lo, vcc_lo
.LBB0_5540:                             ;   in Loop: Header=BB0_7 Depth=1
	s_delay_alu instid0(VALU_DEP_1)
	v_readlane_b32 vcc_lo, v18, 6
	s_and_not1_saveexec_b32 vcc_lo, vcc_lo
; %bb.5541:                             ;   in Loop: Header=BB0_7 Depth=1
	v_add_nc_u32_e32 v11, 0xc0000, v11
; %bb.5542:                             ;   in Loop: Header=BB0_7 Depth=1
	s_or_b32 exec_lo, exec_lo, vcc_lo
.LBB0_5543:                             ;   in Loop: Header=BB0_7 Depth=1
	s_delay_alu instid0(VALU_DEP_1)
	v_readlane_b32 vcc_lo, v18, 5
	s_and_not1_saveexec_b32 vcc_lo, vcc_lo
; %bb.5544:                             ;   in Loop: Header=BB0_7 Depth=1
	v_add_nc_u32_e32 v11, 0x100000, v11
; %bb.5545:                             ;   in Loop: Header=BB0_7 Depth=1
	s_or_b32 exec_lo, exec_lo, vcc_lo
.LBB0_5546:                             ;   in Loop: Header=BB0_7 Depth=1
	s_delay_alu instid0(VALU_DEP_1)
	v_readlane_b32 vcc_lo, v18, 4
	s_and_not1_saveexec_b32 vcc_lo, vcc_lo
; %bb.5547:                             ;   in Loop: Header=BB0_7 Depth=1
	v_add_nc_u32_e32 v11, 0x140000, v11
; %bb.5548:                             ;   in Loop: Header=BB0_7 Depth=1
	s_or_b32 exec_lo, exec_lo, vcc_lo
.LBB0_5549:                             ;   in Loop: Header=BB0_7 Depth=1
	s_delay_alu instid0(VALU_DEP_1)
	v_readlane_b32 vcc_lo, v18, 3
	s_and_not1_saveexec_b32 vcc_lo, vcc_lo
; %bb.5550:                             ;   in Loop: Header=BB0_7 Depth=1
	v_add_nc_u32_e32 v11, 0x180000, v11
; %bb.5551:                             ;   in Loop: Header=BB0_7 Depth=1
	s_or_b32 exec_lo, exec_lo, vcc_lo
.LBB0_5552:                             ;   in Loop: Header=BB0_7 Depth=1
	s_delay_alu instid0(VALU_DEP_1)
	v_readlane_b32 vcc_lo, v18, 2
	s_and_not1_saveexec_b32 vcc_lo, vcc_lo
; %bb.5553:                             ;   in Loop: Header=BB0_7 Depth=1
	v_add_nc_u32_e32 v11, 0x1c0000, v11
; %bb.5554:                             ;   in Loop: Header=BB0_7 Depth=1
	s_or_b32 exec_lo, exec_lo, vcc_lo
.LBB0_5555:                             ;   in Loop: Header=BB0_7 Depth=1
	s_delay_alu instid0(VALU_DEP_1)
	v_readlane_b32 vcc_lo, v18, 1
	s_and_not1_saveexec_b32 vcc_lo, vcc_lo
; %bb.5556:                             ;   in Loop: Header=BB0_7 Depth=1
	v_add_nc_u32_e32 v11, 0x200000, v11
; %bb.5557:                             ;   in Loop: Header=BB0_7 Depth=1
	s_or_b32 exec_lo, exec_lo, vcc_lo
.LBB0_5558:                             ;   in Loop: Header=BB0_7 Depth=1
	s_delay_alu instid0(VALU_DEP_1)
	v_readlane_b32 vcc_lo, v18, 0
	s_and_not1_saveexec_b32 vcc_lo, vcc_lo
; %bb.5559:                             ;   in Loop: Header=BB0_7 Depth=1
	v_add_nc_u32_e32 v11, 0x240000, v11
; %bb.5560:                             ;   in Loop: Header=BB0_7 Depth=1
	s_or_b32 exec_lo, exec_lo, vcc_lo
.LBB0_5561:                             ;   in Loop: Header=BB0_7 Depth=1
	s_and_not1_saveexec_b32 s104, s104
; %bb.5562:                             ;   in Loop: Header=BB0_7 Depth=1
	s_delay_alu instid0(VALU_DEP_1)
	v_add_nc_u32_e32 v11, 0x280000, v11
; %bb.5563:                             ;   in Loop: Header=BB0_7 Depth=1
	s_or_b32 exec_lo, exec_lo, s104
.LBB0_5564:                             ;   in Loop: Header=BB0_7 Depth=1
	s_and_not1_saveexec_b32 s101, s101
; %bb.5565:                             ;   in Loop: Header=BB0_7 Depth=1
	s_delay_alu instid0(VALU_DEP_1)
	v_add_nc_u32_e32 v11, 0x2c0000, v11
; %bb.5566:                             ;   in Loop: Header=BB0_7 Depth=1
	s_or_b32 exec_lo, exec_lo, s101
.LBB0_5567:                             ;   in Loop: Header=BB0_7 Depth=1
	s_and_not1_saveexec_b32 s100, s100
; %bb.5568:                             ;   in Loop: Header=BB0_7 Depth=1
	s_delay_alu instid0(VALU_DEP_1)
	v_add_nc_u32_e32 v11, 0x300000, v11
; %bb.5569:                             ;   in Loop: Header=BB0_7 Depth=1
	s_or_b32 exec_lo, exec_lo, s100
.LBB0_5570:                             ;   in Loop: Header=BB0_7 Depth=1
	s_and_not1_saveexec_b32 s99, s99
; %bb.5571:                             ;   in Loop: Header=BB0_7 Depth=1
	s_delay_alu instid0(VALU_DEP_1)
	v_add_nc_u32_e32 v11, 0x340000, v11
; %bb.5572:                             ;   in Loop: Header=BB0_7 Depth=1
	s_or_b32 exec_lo, exec_lo, s99
.LBB0_5573:                             ;   in Loop: Header=BB0_7 Depth=1
	s_and_not1_saveexec_b32 s98, s98
; %bb.5574:                             ;   in Loop: Header=BB0_7 Depth=1
	s_delay_alu instid0(VALU_DEP_1)
	v_add_nc_u32_e32 v11, 0x380000, v11
; %bb.5575:                             ;   in Loop: Header=BB0_7 Depth=1
	s_or_b32 exec_lo, exec_lo, s98
.LBB0_5576:                             ;   in Loop: Header=BB0_7 Depth=1
	s_and_not1_saveexec_b32 s97, s97
; %bb.5577:                             ;   in Loop: Header=BB0_7 Depth=1
	s_delay_alu instid0(VALU_DEP_1)
	v_add_nc_u32_e32 v11, 0x3c0000, v11
; %bb.5578:                             ;   in Loop: Header=BB0_7 Depth=1
	s_or_b32 exec_lo, exec_lo, s97
.LBB0_5579:                             ;   in Loop: Header=BB0_7 Depth=1
	s_and_not1_saveexec_b32 s96, s96
; %bb.5580:                             ;   in Loop: Header=BB0_7 Depth=1
	s_delay_alu instid0(VALU_DEP_1)
	v_add_nc_u32_e32 v11, 0x400000, v11
; %bb.5581:                             ;   in Loop: Header=BB0_7 Depth=1
	s_or_b32 exec_lo, exec_lo, s96
.LBB0_5582:                             ;   in Loop: Header=BB0_7 Depth=1
	s_and_not1_saveexec_b32 s95, s95
; %bb.5583:                             ;   in Loop: Header=BB0_7 Depth=1
	s_delay_alu instid0(VALU_DEP_1)
	v_add_nc_u32_e32 v11, 0x440000, v11
; %bb.5584:                             ;   in Loop: Header=BB0_7 Depth=1
	s_or_b32 exec_lo, exec_lo, s95
.LBB0_5585:                             ;   in Loop: Header=BB0_7 Depth=1
	s_and_not1_saveexec_b32 s94, s94
; %bb.5586:                             ;   in Loop: Header=BB0_7 Depth=1
	s_delay_alu instid0(VALU_DEP_1)
	v_add_nc_u32_e32 v11, 0x480000, v11
; %bb.5587:                             ;   in Loop: Header=BB0_7 Depth=1
	s_or_b32 exec_lo, exec_lo, s94
.LBB0_5588:                             ;   in Loop: Header=BB0_7 Depth=1
	s_and_not1_saveexec_b32 s93, s93
; %bb.5589:                             ;   in Loop: Header=BB0_7 Depth=1
	s_delay_alu instid0(VALU_DEP_1)
	v_add_nc_u32_e32 v11, 0x4c0000, v11
; %bb.5590:                             ;   in Loop: Header=BB0_7 Depth=1
	s_or_b32 exec_lo, exec_lo, s93
.LBB0_5591:                             ;   in Loop: Header=BB0_7 Depth=1
	s_and_not1_saveexec_b32 s92, s92
; %bb.5592:                             ;   in Loop: Header=BB0_7 Depth=1
	s_delay_alu instid0(VALU_DEP_1)
	v_add_nc_u32_e32 v11, 0x500000, v11
; %bb.5593:                             ;   in Loop: Header=BB0_7 Depth=1
	s_or_b32 exec_lo, exec_lo, s92
.LBB0_5594:                             ;   in Loop: Header=BB0_7 Depth=1
	s_and_not1_saveexec_b32 s91, s91
; %bb.5595:                             ;   in Loop: Header=BB0_7 Depth=1
	s_delay_alu instid0(VALU_DEP_1)
	v_add_nc_u32_e32 v11, 0x540000, v11
; %bb.5596:                             ;   in Loop: Header=BB0_7 Depth=1
	s_or_b32 exec_lo, exec_lo, s91
.LBB0_5597:                             ;   in Loop: Header=BB0_7 Depth=1
	s_and_not1_saveexec_b32 s90, s90
; %bb.5598:                             ;   in Loop: Header=BB0_7 Depth=1
	s_delay_alu instid0(VALU_DEP_1)
	v_add_nc_u32_e32 v11, 0x580000, v11
; %bb.5599:                             ;   in Loop: Header=BB0_7 Depth=1
	s_or_b32 exec_lo, exec_lo, s90
.LBB0_5600:                             ;   in Loop: Header=BB0_7 Depth=1
	s_and_not1_saveexec_b32 s89, s89
; %bb.5601:                             ;   in Loop: Header=BB0_7 Depth=1
	s_delay_alu instid0(VALU_DEP_1)
	v_add_nc_u32_e32 v11, 0x5c0000, v11
; %bb.5602:                             ;   in Loop: Header=BB0_7 Depth=1
	s_or_b32 exec_lo, exec_lo, s89
.LBB0_5603:                             ;   in Loop: Header=BB0_7 Depth=1
	s_and_not1_saveexec_b32 s88, s88
; %bb.5604:                             ;   in Loop: Header=BB0_7 Depth=1
	s_delay_alu instid0(VALU_DEP_1)
	v_add_nc_u32_e32 v11, 0x600000, v11
; %bb.5605:                             ;   in Loop: Header=BB0_7 Depth=1
	s_or_b32 exec_lo, exec_lo, s88
.LBB0_5606:                             ;   in Loop: Header=BB0_7 Depth=1
	s_and_not1_saveexec_b32 s87, s87
; %bb.5607:                             ;   in Loop: Header=BB0_7 Depth=1
	s_delay_alu instid0(VALU_DEP_1)
	v_add_nc_u32_e32 v11, 0x640000, v11
; %bb.5608:                             ;   in Loop: Header=BB0_7 Depth=1
	s_or_b32 exec_lo, exec_lo, s87
.LBB0_5609:                             ;   in Loop: Header=BB0_7 Depth=1
	s_and_not1_saveexec_b32 s86, s86
; %bb.5610:                             ;   in Loop: Header=BB0_7 Depth=1
	s_delay_alu instid0(VALU_DEP_1)
	v_add_nc_u32_e32 v11, 0x680000, v11
; %bb.5611:                             ;   in Loop: Header=BB0_7 Depth=1
	s_or_b32 exec_lo, exec_lo, s86
.LBB0_5612:                             ;   in Loop: Header=BB0_7 Depth=1
	s_and_not1_saveexec_b32 s85, s85
; %bb.5613:                             ;   in Loop: Header=BB0_7 Depth=1
	s_delay_alu instid0(VALU_DEP_1)
	v_add_nc_u32_e32 v11, 0x6c0000, v11
; %bb.5614:                             ;   in Loop: Header=BB0_7 Depth=1
	s_or_b32 exec_lo, exec_lo, s85
.LBB0_5615:                             ;   in Loop: Header=BB0_7 Depth=1
	s_and_not1_saveexec_b32 s84, s84
; %bb.5616:                             ;   in Loop: Header=BB0_7 Depth=1
	s_delay_alu instid0(VALU_DEP_1)
	v_add_nc_u32_e32 v11, 0x700000, v11
; %bb.5617:                             ;   in Loop: Header=BB0_7 Depth=1
	s_or_b32 exec_lo, exec_lo, s84
.LBB0_5618:                             ;   in Loop: Header=BB0_7 Depth=1
	s_and_not1_saveexec_b32 s83, s83
; %bb.5619:                             ;   in Loop: Header=BB0_7 Depth=1
	s_delay_alu instid0(VALU_DEP_1)
	v_add_nc_u32_e32 v11, 0x740000, v11
; %bb.5620:                             ;   in Loop: Header=BB0_7 Depth=1
	s_or_b32 exec_lo, exec_lo, s83
.LBB0_5621:                             ;   in Loop: Header=BB0_7 Depth=1
	s_and_not1_saveexec_b32 s82, s82
; %bb.5622:                             ;   in Loop: Header=BB0_7 Depth=1
	s_delay_alu instid0(VALU_DEP_1)
	v_add_nc_u32_e32 v11, 0x780000, v11
; %bb.5623:                             ;   in Loop: Header=BB0_7 Depth=1
	s_or_b32 exec_lo, exec_lo, s82
.LBB0_5624:                             ;   in Loop: Header=BB0_7 Depth=1
	s_and_not1_saveexec_b32 s81, s81
; %bb.5625:                             ;   in Loop: Header=BB0_7 Depth=1
	s_delay_alu instid0(VALU_DEP_1)
	v_add_nc_u32_e32 v11, 0x7c0000, v11
; %bb.5626:                             ;   in Loop: Header=BB0_7 Depth=1
	s_or_b32 exec_lo, exec_lo, s81
.LBB0_5627:                             ;   in Loop: Header=BB0_7 Depth=1
	s_delay_alu instid0(SALU_CYCLE_1) | instskip(SKIP_1) | instid1(SALU_CYCLE_1)
	s_or_b32 exec_lo, exec_lo, s63
	s_or_b32 s63, s33, 51
	v_cmp_ge_u32_e32 vcc_lo, s63, v0
	s_and_saveexec_b32 s63, vcc_lo
	s_delay_alu instid0(SALU_CYCLE_1)
	s_xor_b32 s63, exec_lo, s63
; %bb.5628:                             ;   in Loop: Header=BB0_7 Depth=1
	v_add_nc_u32_e32 v11, 0x7c000000, v11
; %bb.5629:                             ;   in Loop: Header=BB0_7 Depth=1
	s_and_not1_saveexec_b32 s63, s63
	s_cbranch_execz .LBB0_5753
; %bb.5630:                             ;   in Loop: Header=BB0_7 Depth=1
	s_add_co_i32 s81, s62, 0
	s_delay_alu instid0(SALU_CYCLE_1)
	v_mov_b32_e32 v1, s81
	s_mov_b32 s81, exec_lo
	ds_load_2addr_b64 v[12:15], v1 offset0:153 offset1:154
	ds_load_b64 v[16:17], v1 offset:1240
	s_wait_dscnt 0x1
	v_mul_f64_e32 v[8:9], v[4:5], v[14:15]
	s_delay_alu instid0(VALU_DEP_1) | instskip(SKIP_1) | instid1(VALU_DEP_1)
	v_fmac_f64_e32 v[8:9], v[2:3], v[12:13]
	s_wait_dscnt 0x0
	v_fmac_f64_e32 v[8:9], v[6:7], v[16:17]
	s_delay_alu instid0(VALU_DEP_1)
	v_cmpx_ngt_f64_e32 s[60:61], v[8:9]
	s_xor_b32 s81, exec_lo, s81
	s_cbranch_execz .LBB0_5750
; %bb.5631:                             ;   in Loop: Header=BB0_7 Depth=1
	s_mov_b32 s82, exec_lo
	v_cmpx_ngt_f64_e32 s[66:67], v[8:9]
	s_xor_b32 s82, exec_lo, s82
	s_cbranch_execz .LBB0_5747
; %bb.5632:                             ;   in Loop: Header=BB0_7 Depth=1
	s_mov_b32 s83, exec_lo
	v_cmpx_ngt_f64_e32 s[64:65], v[8:9]
	s_xor_b32 s83, exec_lo, s83
	s_cbranch_execz .LBB0_5744
; %bb.5633:                             ;   in Loop: Header=BB0_7 Depth=1
	s_mov_b32 s84, exec_lo
	v_cmpx_ngt_f64_e32 s[58:59], v[8:9]
	s_xor_b32 s84, exec_lo, s84
	s_cbranch_execz .LBB0_5741
; %bb.5634:                             ;   in Loop: Header=BB0_7 Depth=1
	s_mov_b32 s85, exec_lo
	v_cmpx_ngt_f64_e32 s[56:57], v[8:9]
	s_xor_b32 s85, exec_lo, s85
	s_cbranch_execz .LBB0_5738
; %bb.5635:                             ;   in Loop: Header=BB0_7 Depth=1
	s_mov_b32 s86, exec_lo
	v_cmpx_ngt_f64_e32 s[54:55], v[8:9]
	s_xor_b32 s86, exec_lo, s86
	s_cbranch_execz .LBB0_5735
; %bb.5636:                             ;   in Loop: Header=BB0_7 Depth=1
	s_mov_b32 s87, exec_lo
	v_cmpx_ngt_f64_e32 s[52:53], v[8:9]
	s_xor_b32 s87, exec_lo, s87
	s_cbranch_execz .LBB0_5732
; %bb.5637:                             ;   in Loop: Header=BB0_7 Depth=1
	s_mov_b32 s88, exec_lo
	v_cmpx_ngt_f64_e32 s[14:15], v[8:9]
	s_xor_b32 s88, exec_lo, s88
	s_cbranch_execz .LBB0_5729
; %bb.5638:                             ;   in Loop: Header=BB0_7 Depth=1
	s_mov_b32 s89, exec_lo
	v_cmpx_ngt_f64_e32 s[12:13], v[8:9]
	s_xor_b32 s89, exec_lo, s89
	s_cbranch_execz .LBB0_5726
; %bb.5639:                             ;   in Loop: Header=BB0_7 Depth=1
	s_mov_b32 s90, exec_lo
	v_cmpx_ngt_f64_e32 s[10:11], v[8:9]
	s_xor_b32 s90, exec_lo, s90
	s_cbranch_execz .LBB0_5723
; %bb.5640:                             ;   in Loop: Header=BB0_7 Depth=1
	s_mov_b32 s91, exec_lo
	v_cmpx_ngt_f64_e32 s[8:9], v[8:9]
	s_xor_b32 s91, exec_lo, s91
	s_cbranch_execz .LBB0_5720
; %bb.5641:                             ;   in Loop: Header=BB0_7 Depth=1
	s_mov_b32 s92, exec_lo
	v_cmpx_ngt_f64_e32 s[6:7], v[8:9]
	s_xor_b32 s92, exec_lo, s92
	s_cbranch_execz .LBB0_5717
; %bb.5642:                             ;   in Loop: Header=BB0_7 Depth=1
	s_mov_b32 s93, exec_lo
	v_cmpx_ngt_f64_e32 s[4:5], v[8:9]
	s_xor_b32 s93, exec_lo, s93
	s_cbranch_execz .LBB0_5714
; %bb.5643:                             ;   in Loop: Header=BB0_7 Depth=1
	s_mov_b32 s94, exec_lo
	v_cmpx_ngt_f64_e32 s[2:3], v[8:9]
	s_xor_b32 s94, exec_lo, s94
	s_cbranch_execz .LBB0_5711
; %bb.5644:                             ;   in Loop: Header=BB0_7 Depth=1
	s_mov_b32 s95, exec_lo
	v_cmpx_ngt_f64_e32 s[0:1], v[8:9]
	s_xor_b32 s95, exec_lo, s95
	s_cbranch_execz .LBB0_5708
; %bb.5645:                             ;   in Loop: Header=BB0_7 Depth=1
	s_mov_b32 s96, exec_lo
	v_cmpx_ngt_f64_e32 s[30:31], v[8:9]
	s_xor_b32 s96, exec_lo, s96
	s_cbranch_execz .LBB0_5705
; %bb.5646:                             ;   in Loop: Header=BB0_7 Depth=1
	s_mov_b32 s97, exec_lo
	v_cmpx_ngt_f64_e32 s[28:29], v[8:9]
	s_xor_b32 s97, exec_lo, s97
	s_cbranch_execz .LBB0_5702
; %bb.5647:                             ;   in Loop: Header=BB0_7 Depth=1
	s_mov_b32 s98, exec_lo
	v_cmpx_ngt_f64_e32 s[26:27], v[8:9]
	s_xor_b32 s98, exec_lo, s98
	s_cbranch_execz .LBB0_5699
; %bb.5648:                             ;   in Loop: Header=BB0_7 Depth=1
	s_mov_b32 s99, exec_lo
	v_cmpx_ngt_f64_e32 s[24:25], v[8:9]
	s_xor_b32 s99, exec_lo, s99
	s_cbranch_execz .LBB0_5696
; %bb.5649:                             ;   in Loop: Header=BB0_7 Depth=1
	s_mov_b32 s100, exec_lo
	v_cmpx_ngt_f64_e32 s[22:23], v[8:9]
	s_xor_b32 s100, exec_lo, s100
	s_cbranch_execz .LBB0_5693
; %bb.5650:                             ;   in Loop: Header=BB0_7 Depth=1
	s_mov_b32 s101, exec_lo
	v_cmpx_ngt_f64_e32 s[20:21], v[8:9]
	s_xor_b32 s101, exec_lo, s101
	s_cbranch_execz .LBB0_5690
; %bb.5651:                             ;   in Loop: Header=BB0_7 Depth=1
	s_mov_b32 s104, exec_lo
	v_cmpx_ngt_f64_e32 s[18:19], v[8:9]
	s_xor_b32 s104, exec_lo, s104
	s_cbranch_execz .LBB0_5687
; %bb.5652:                             ;   in Loop: Header=BB0_7 Depth=1
	s_mov_b32 vcc_hi, exec_lo
	v_cmpx_ngt_f64_e32 s[16:17], v[8:9]
	s_xor_b32 vcc_hi, exec_lo, vcc_hi
	s_delay_alu instid0(SALU_CYCLE_1)
	v_writelane_b32 v18, vcc_hi, 0
	s_cbranch_execz .LBB0_5684
; %bb.5653:                             ;   in Loop: Header=BB0_7 Depth=1
	s_mov_b32 vcc_hi, exec_lo
	v_cmpx_ngt_f64_e32 s[50:51], v[8:9]
	s_xor_b32 vcc_hi, exec_lo, vcc_hi
	s_delay_alu instid0(SALU_CYCLE_1)
	v_writelane_b32 v18, vcc_hi, 1
	;; [unrolled: 7-line block ×8, first 2 shown]
	s_cbranch_execz .LBB0_5663
; %bb.5660:                             ;   in Loop: Header=BB0_7 Depth=1
	s_mov_b32 vcc_lo, exec_lo
	v_cmpx_gt_f64_e32 s[36:37], v[8:9]
; %bb.5661:                             ;   in Loop: Header=BB0_7 Depth=1
	v_add_nc_u32_e32 v11, 0x4000000, v11
; %bb.5662:                             ;   in Loop: Header=BB0_7 Depth=1
	s_or_b32 exec_lo, exec_lo, vcc_lo
.LBB0_5663:                             ;   in Loop: Header=BB0_7 Depth=1
	s_delay_alu instid0(VALU_DEP_1)
	v_readlane_b32 vcc_lo, v18, 8
	s_and_not1_saveexec_b32 vcc_lo, vcc_lo
; %bb.5664:                             ;   in Loop: Header=BB0_7 Depth=1
	v_add_nc_u32_e32 v11, 0x8000000, v11
; %bb.5665:                             ;   in Loop: Header=BB0_7 Depth=1
	s_or_b32 exec_lo, exec_lo, vcc_lo
.LBB0_5666:                             ;   in Loop: Header=BB0_7 Depth=1
	s_delay_alu instid0(VALU_DEP_1)
	v_readlane_b32 vcc_lo, v18, 6
	s_and_not1_saveexec_b32 vcc_lo, vcc_lo
; %bb.5667:                             ;   in Loop: Header=BB0_7 Depth=1
	v_add_nc_u32_e32 v11, 0xc000000, v11
; %bb.5668:                             ;   in Loop: Header=BB0_7 Depth=1
	s_or_b32 exec_lo, exec_lo, vcc_lo
.LBB0_5669:                             ;   in Loop: Header=BB0_7 Depth=1
	s_delay_alu instid0(VALU_DEP_1)
	v_readlane_b32 vcc_lo, v18, 5
	s_and_not1_saveexec_b32 vcc_lo, vcc_lo
; %bb.5670:                             ;   in Loop: Header=BB0_7 Depth=1
	v_add_nc_u32_e32 v11, 0x10000000, v11
; %bb.5671:                             ;   in Loop: Header=BB0_7 Depth=1
	s_or_b32 exec_lo, exec_lo, vcc_lo
.LBB0_5672:                             ;   in Loop: Header=BB0_7 Depth=1
	s_delay_alu instid0(VALU_DEP_1)
	v_readlane_b32 vcc_lo, v18, 4
	s_and_not1_saveexec_b32 vcc_lo, vcc_lo
; %bb.5673:                             ;   in Loop: Header=BB0_7 Depth=1
	v_add_nc_u32_e32 v11, 0x14000000, v11
; %bb.5674:                             ;   in Loop: Header=BB0_7 Depth=1
	s_or_b32 exec_lo, exec_lo, vcc_lo
.LBB0_5675:                             ;   in Loop: Header=BB0_7 Depth=1
	s_delay_alu instid0(VALU_DEP_1)
	v_readlane_b32 vcc_lo, v18, 3
	s_and_not1_saveexec_b32 vcc_lo, vcc_lo
; %bb.5676:                             ;   in Loop: Header=BB0_7 Depth=1
	v_add_nc_u32_e32 v11, 0x18000000, v11
; %bb.5677:                             ;   in Loop: Header=BB0_7 Depth=1
	s_or_b32 exec_lo, exec_lo, vcc_lo
.LBB0_5678:                             ;   in Loop: Header=BB0_7 Depth=1
	s_delay_alu instid0(VALU_DEP_1)
	v_readlane_b32 vcc_lo, v18, 2
	s_and_not1_saveexec_b32 vcc_lo, vcc_lo
; %bb.5679:                             ;   in Loop: Header=BB0_7 Depth=1
	v_add_nc_u32_e32 v11, 0x1c000000, v11
; %bb.5680:                             ;   in Loop: Header=BB0_7 Depth=1
	s_or_b32 exec_lo, exec_lo, vcc_lo
.LBB0_5681:                             ;   in Loop: Header=BB0_7 Depth=1
	s_delay_alu instid0(VALU_DEP_1)
	v_readlane_b32 vcc_lo, v18, 1
	s_and_not1_saveexec_b32 vcc_lo, vcc_lo
; %bb.5682:                             ;   in Loop: Header=BB0_7 Depth=1
	v_add_nc_u32_e32 v11, 0x20000000, v11
; %bb.5683:                             ;   in Loop: Header=BB0_7 Depth=1
	s_or_b32 exec_lo, exec_lo, vcc_lo
.LBB0_5684:                             ;   in Loop: Header=BB0_7 Depth=1
	s_delay_alu instid0(VALU_DEP_1)
	v_readlane_b32 vcc_lo, v18, 0
	s_and_not1_saveexec_b32 vcc_lo, vcc_lo
; %bb.5685:                             ;   in Loop: Header=BB0_7 Depth=1
	v_add_nc_u32_e32 v11, 0x24000000, v11
; %bb.5686:                             ;   in Loop: Header=BB0_7 Depth=1
	s_or_b32 exec_lo, exec_lo, vcc_lo
.LBB0_5687:                             ;   in Loop: Header=BB0_7 Depth=1
	s_and_not1_saveexec_b32 s104, s104
; %bb.5688:                             ;   in Loop: Header=BB0_7 Depth=1
	s_delay_alu instid0(VALU_DEP_1)
	v_add_nc_u32_e32 v11, 0x28000000, v11
; %bb.5689:                             ;   in Loop: Header=BB0_7 Depth=1
	s_or_b32 exec_lo, exec_lo, s104
.LBB0_5690:                             ;   in Loop: Header=BB0_7 Depth=1
	s_and_not1_saveexec_b32 s101, s101
; %bb.5691:                             ;   in Loop: Header=BB0_7 Depth=1
	s_delay_alu instid0(VALU_DEP_1)
	v_add_nc_u32_e32 v11, 0x2c000000, v11
; %bb.5692:                             ;   in Loop: Header=BB0_7 Depth=1
	s_or_b32 exec_lo, exec_lo, s101
.LBB0_5693:                             ;   in Loop: Header=BB0_7 Depth=1
	s_and_not1_saveexec_b32 s100, s100
; %bb.5694:                             ;   in Loop: Header=BB0_7 Depth=1
	s_delay_alu instid0(VALU_DEP_1)
	v_add_nc_u32_e32 v11, 0x30000000, v11
; %bb.5695:                             ;   in Loop: Header=BB0_7 Depth=1
	s_or_b32 exec_lo, exec_lo, s100
.LBB0_5696:                             ;   in Loop: Header=BB0_7 Depth=1
	s_and_not1_saveexec_b32 s99, s99
; %bb.5697:                             ;   in Loop: Header=BB0_7 Depth=1
	s_delay_alu instid0(VALU_DEP_1)
	v_add_nc_u32_e32 v11, 0x34000000, v11
; %bb.5698:                             ;   in Loop: Header=BB0_7 Depth=1
	s_or_b32 exec_lo, exec_lo, s99
.LBB0_5699:                             ;   in Loop: Header=BB0_7 Depth=1
	s_and_not1_saveexec_b32 s98, s98
; %bb.5700:                             ;   in Loop: Header=BB0_7 Depth=1
	s_delay_alu instid0(VALU_DEP_1)
	v_add_nc_u32_e32 v11, 0x38000000, v11
; %bb.5701:                             ;   in Loop: Header=BB0_7 Depth=1
	s_or_b32 exec_lo, exec_lo, s98
.LBB0_5702:                             ;   in Loop: Header=BB0_7 Depth=1
	s_and_not1_saveexec_b32 s97, s97
; %bb.5703:                             ;   in Loop: Header=BB0_7 Depth=1
	s_delay_alu instid0(VALU_DEP_1)
	v_add_nc_u32_e32 v11, 0x3c000000, v11
; %bb.5704:                             ;   in Loop: Header=BB0_7 Depth=1
	s_or_b32 exec_lo, exec_lo, s97
.LBB0_5705:                             ;   in Loop: Header=BB0_7 Depth=1
	s_and_not1_saveexec_b32 s96, s96
; %bb.5706:                             ;   in Loop: Header=BB0_7 Depth=1
	s_delay_alu instid0(VALU_DEP_1)
	v_add_nc_u32_e32 v11, 2.0, v11
; %bb.5707:                             ;   in Loop: Header=BB0_7 Depth=1
	s_or_b32 exec_lo, exec_lo, s96
.LBB0_5708:                             ;   in Loop: Header=BB0_7 Depth=1
	s_and_not1_saveexec_b32 s95, s95
; %bb.5709:                             ;   in Loop: Header=BB0_7 Depth=1
	s_delay_alu instid0(VALU_DEP_1)
	v_add_nc_u32_e32 v11, 0x44000000, v11
; %bb.5710:                             ;   in Loop: Header=BB0_7 Depth=1
	s_or_b32 exec_lo, exec_lo, s95
.LBB0_5711:                             ;   in Loop: Header=BB0_7 Depth=1
	s_and_not1_saveexec_b32 s94, s94
; %bb.5712:                             ;   in Loop: Header=BB0_7 Depth=1
	s_delay_alu instid0(VALU_DEP_1)
	v_add_nc_u32_e32 v11, 0x48000000, v11
; %bb.5713:                             ;   in Loop: Header=BB0_7 Depth=1
	s_or_b32 exec_lo, exec_lo, s94
.LBB0_5714:                             ;   in Loop: Header=BB0_7 Depth=1
	s_and_not1_saveexec_b32 s93, s93
; %bb.5715:                             ;   in Loop: Header=BB0_7 Depth=1
	s_delay_alu instid0(VALU_DEP_1)
	v_add_nc_u32_e32 v11, 0x4c000000, v11
; %bb.5716:                             ;   in Loop: Header=BB0_7 Depth=1
	s_or_b32 exec_lo, exec_lo, s93
.LBB0_5717:                             ;   in Loop: Header=BB0_7 Depth=1
	s_and_not1_saveexec_b32 s92, s92
; %bb.5718:                             ;   in Loop: Header=BB0_7 Depth=1
	s_delay_alu instid0(VALU_DEP_1)
	v_add_nc_u32_e32 v11, 0x50000000, v11
; %bb.5719:                             ;   in Loop: Header=BB0_7 Depth=1
	s_or_b32 exec_lo, exec_lo, s92
.LBB0_5720:                             ;   in Loop: Header=BB0_7 Depth=1
	s_and_not1_saveexec_b32 s91, s91
; %bb.5721:                             ;   in Loop: Header=BB0_7 Depth=1
	s_delay_alu instid0(VALU_DEP_1)
	v_add_nc_u32_e32 v11, 0x54000000, v11
; %bb.5722:                             ;   in Loop: Header=BB0_7 Depth=1
	s_or_b32 exec_lo, exec_lo, s91
.LBB0_5723:                             ;   in Loop: Header=BB0_7 Depth=1
	s_and_not1_saveexec_b32 s90, s90
; %bb.5724:                             ;   in Loop: Header=BB0_7 Depth=1
	s_delay_alu instid0(VALU_DEP_1)
	v_add_nc_u32_e32 v11, 0x58000000, v11
; %bb.5725:                             ;   in Loop: Header=BB0_7 Depth=1
	s_or_b32 exec_lo, exec_lo, s90
.LBB0_5726:                             ;   in Loop: Header=BB0_7 Depth=1
	s_and_not1_saveexec_b32 s89, s89
; %bb.5727:                             ;   in Loop: Header=BB0_7 Depth=1
	s_delay_alu instid0(VALU_DEP_1)
	v_add_nc_u32_e32 v11, 0x5c000000, v11
; %bb.5728:                             ;   in Loop: Header=BB0_7 Depth=1
	s_or_b32 exec_lo, exec_lo, s89
.LBB0_5729:                             ;   in Loop: Header=BB0_7 Depth=1
	s_and_not1_saveexec_b32 s88, s88
; %bb.5730:                             ;   in Loop: Header=BB0_7 Depth=1
	s_delay_alu instid0(VALU_DEP_1)
	v_add_nc_u32_e32 v11, 0x60000000, v11
; %bb.5731:                             ;   in Loop: Header=BB0_7 Depth=1
	s_or_b32 exec_lo, exec_lo, s88
.LBB0_5732:                             ;   in Loop: Header=BB0_7 Depth=1
	s_and_not1_saveexec_b32 s87, s87
; %bb.5733:                             ;   in Loop: Header=BB0_7 Depth=1
	s_delay_alu instid0(VALU_DEP_1)
	v_add_nc_u32_e32 v11, 0x64000000, v11
; %bb.5734:                             ;   in Loop: Header=BB0_7 Depth=1
	s_or_b32 exec_lo, exec_lo, s87
.LBB0_5735:                             ;   in Loop: Header=BB0_7 Depth=1
	s_and_not1_saveexec_b32 s86, s86
; %bb.5736:                             ;   in Loop: Header=BB0_7 Depth=1
	s_delay_alu instid0(VALU_DEP_1)
	v_add_nc_u32_e32 v11, 0x68000000, v11
; %bb.5737:                             ;   in Loop: Header=BB0_7 Depth=1
	s_or_b32 exec_lo, exec_lo, s86
.LBB0_5738:                             ;   in Loop: Header=BB0_7 Depth=1
	s_and_not1_saveexec_b32 s85, s85
; %bb.5739:                             ;   in Loop: Header=BB0_7 Depth=1
	s_delay_alu instid0(VALU_DEP_1)
	v_add_nc_u32_e32 v11, 0x6c000000, v11
; %bb.5740:                             ;   in Loop: Header=BB0_7 Depth=1
	s_or_b32 exec_lo, exec_lo, s85
.LBB0_5741:                             ;   in Loop: Header=BB0_7 Depth=1
	s_and_not1_saveexec_b32 s84, s84
; %bb.5742:                             ;   in Loop: Header=BB0_7 Depth=1
	s_delay_alu instid0(VALU_DEP_1)
	v_add_nc_u32_e32 v11, 0x70000000, v11
; %bb.5743:                             ;   in Loop: Header=BB0_7 Depth=1
	s_or_b32 exec_lo, exec_lo, s84
.LBB0_5744:                             ;   in Loop: Header=BB0_7 Depth=1
	s_and_not1_saveexec_b32 s83, s83
; %bb.5745:                             ;   in Loop: Header=BB0_7 Depth=1
	s_delay_alu instid0(VALU_DEP_1)
	v_add_nc_u32_e32 v11, 0x74000000, v11
; %bb.5746:                             ;   in Loop: Header=BB0_7 Depth=1
	s_or_b32 exec_lo, exec_lo, s83
.LBB0_5747:                             ;   in Loop: Header=BB0_7 Depth=1
	s_and_not1_saveexec_b32 s82, s82
; %bb.5748:                             ;   in Loop: Header=BB0_7 Depth=1
	s_delay_alu instid0(VALU_DEP_1)
	v_add_nc_u32_e32 v11, 0x78000000, v11
; %bb.5749:                             ;   in Loop: Header=BB0_7 Depth=1
	s_or_b32 exec_lo, exec_lo, s82
.LBB0_5750:                             ;   in Loop: Header=BB0_7 Depth=1
	s_and_not1_saveexec_b32 s81, s81
; %bb.5751:                             ;   in Loop: Header=BB0_7 Depth=1
	s_delay_alu instid0(VALU_DEP_1)
	v_add_nc_u32_e32 v11, 0x7c000000, v11
; %bb.5752:                             ;   in Loop: Header=BB0_7 Depth=1
	s_or_b32 exec_lo, exec_lo, s81
.LBB0_5753:                             ;   in Loop: Header=BB0_7 Depth=1
	s_delay_alu instid0(SALU_CYCLE_1)
	s_or_b32 exec_lo, exec_lo, s63
	v_lshl_add_u32 v8, s80, 12, v10
	v_mov_b32_e32 v1, 0x7c
	s_or_b32 s63, s33, 52
	s_mov_b32 s80, exec_lo
	global_store_b32 v8, v11, s[34:35] scale_offset
	s_wait_xcnt 0x0
	v_cmpx_lt_u32_e64 s63, v0
	s_cbranch_execz .LBB0_5817
; %bb.5754:                             ;   in Loop: Header=BB0_7 Depth=1
	s_add_co_i32 s81, s62, 0
	s_delay_alu instid0(SALU_CYCLE_1)
	v_mov_b32_e32 v1, s81
	s_mov_b32 s81, exec_lo
	ds_load_2addr_b64 v[12:15], v1 offset0:156 offset1:157
	ds_load_b64 v[16:17], v1 offset:1264
	v_mov_b32_e32 v1, 0x7c
	s_wait_dscnt 0x1
	v_mul_f64_e32 v[8:9], v[4:5], v[14:15]
	s_delay_alu instid0(VALU_DEP_1) | instskip(SKIP_1) | instid1(VALU_DEP_1)
	v_fmac_f64_e32 v[8:9], v[2:3], v[12:13]
	s_wait_dscnt 0x0
	v_fmac_f64_e32 v[8:9], v[6:7], v[16:17]
	s_delay_alu instid0(VALU_DEP_1)
	v_cmpx_ngt_f64_e32 s[60:61], v[8:9]
	s_cbranch_execz .LBB0_5816
; %bb.5755:                             ;   in Loop: Header=BB0_7 Depth=1
	v_mov_b32_e32 v1, 0x78
	s_mov_b32 s82, exec_lo
	v_cmpx_ngt_f64_e32 s[66:67], v[8:9]
	s_cbranch_execz .LBB0_5815
; %bb.5756:                             ;   in Loop: Header=BB0_7 Depth=1
	v_mov_b32_e32 v1, 0x74
	s_mov_b32 s83, exec_lo
	v_cmpx_ngt_f64_e32 s[64:65], v[8:9]
	s_cbranch_execz .LBB0_5814
; %bb.5757:                             ;   in Loop: Header=BB0_7 Depth=1
	v_mov_b32_e32 v1, 0x70
	s_mov_b32 s84, exec_lo
	v_cmpx_ngt_f64_e32 s[58:59], v[8:9]
	s_cbranch_execz .LBB0_5813
; %bb.5758:                             ;   in Loop: Header=BB0_7 Depth=1
	v_mov_b32_e32 v1, 0x6c
	s_mov_b32 s85, exec_lo
	v_cmpx_ngt_f64_e32 s[56:57], v[8:9]
	s_cbranch_execz .LBB0_5812
; %bb.5759:                             ;   in Loop: Header=BB0_7 Depth=1
	v_mov_b32_e32 v1, 0x68
	s_mov_b32 s86, exec_lo
	v_cmpx_ngt_f64_e32 s[54:55], v[8:9]
	s_cbranch_execz .LBB0_5811
; %bb.5760:                             ;   in Loop: Header=BB0_7 Depth=1
	v_mov_b32_e32 v1, 0x64
	s_mov_b32 s87, exec_lo
	v_cmpx_ngt_f64_e32 s[52:53], v[8:9]
	s_cbranch_execz .LBB0_5810
; %bb.5761:                             ;   in Loop: Header=BB0_7 Depth=1
	v_mov_b32_e32 v1, 0x60
	s_mov_b32 s88, exec_lo
	v_cmpx_ngt_f64_e32 s[14:15], v[8:9]
	s_cbranch_execz .LBB0_5809
; %bb.5762:                             ;   in Loop: Header=BB0_7 Depth=1
	v_mov_b32_e32 v1, 0x5c
	s_mov_b32 s89, exec_lo
	v_cmpx_ngt_f64_e32 s[12:13], v[8:9]
	s_cbranch_execz .LBB0_5808
; %bb.5763:                             ;   in Loop: Header=BB0_7 Depth=1
	v_mov_b32_e32 v1, 0x58
	s_mov_b32 s90, exec_lo
	v_cmpx_ngt_f64_e32 s[10:11], v[8:9]
	s_cbranch_execz .LBB0_5807
; %bb.5764:                             ;   in Loop: Header=BB0_7 Depth=1
	v_mov_b32_e32 v1, 0x54
	s_mov_b32 s91, exec_lo
	v_cmpx_ngt_f64_e32 s[8:9], v[8:9]
	s_cbranch_execz .LBB0_5806
; %bb.5765:                             ;   in Loop: Header=BB0_7 Depth=1
	v_mov_b32_e32 v1, 0x50
	s_mov_b32 s92, exec_lo
	v_cmpx_ngt_f64_e32 s[6:7], v[8:9]
	s_cbranch_execz .LBB0_5805
; %bb.5766:                             ;   in Loop: Header=BB0_7 Depth=1
	v_mov_b32_e32 v1, 0x4c
	s_mov_b32 s93, exec_lo
	v_cmpx_ngt_f64_e32 s[4:5], v[8:9]
	s_cbranch_execz .LBB0_5804
; %bb.5767:                             ;   in Loop: Header=BB0_7 Depth=1
	v_mov_b32_e32 v1, 0x48
	s_mov_b32 s94, exec_lo
	v_cmpx_ngt_f64_e32 s[2:3], v[8:9]
	s_cbranch_execz .LBB0_5803
; %bb.5768:                             ;   in Loop: Header=BB0_7 Depth=1
	v_mov_b32_e32 v1, 0x44
	s_mov_b32 s95, exec_lo
	v_cmpx_ngt_f64_e32 s[0:1], v[8:9]
	s_cbranch_execz .LBB0_5802
; %bb.5769:                             ;   in Loop: Header=BB0_7 Depth=1
	v_mov_b32_e32 v1, 64
	s_mov_b32 s96, exec_lo
	v_cmpx_ngt_f64_e32 s[30:31], v[8:9]
	s_cbranch_execz .LBB0_5801
; %bb.5770:                             ;   in Loop: Header=BB0_7 Depth=1
	v_mov_b32_e32 v1, 60
	s_mov_b32 s97, exec_lo
	v_cmpx_ngt_f64_e32 s[28:29], v[8:9]
	s_cbranch_execz .LBB0_5800
; %bb.5771:                             ;   in Loop: Header=BB0_7 Depth=1
	v_mov_b32_e32 v1, 56
	s_mov_b32 s98, exec_lo
	v_cmpx_ngt_f64_e32 s[26:27], v[8:9]
	s_cbranch_execz .LBB0_5799
; %bb.5772:                             ;   in Loop: Header=BB0_7 Depth=1
	v_mov_b32_e32 v1, 52
	s_mov_b32 s99, exec_lo
	v_cmpx_ngt_f64_e32 s[24:25], v[8:9]
	s_cbranch_execz .LBB0_5798
; %bb.5773:                             ;   in Loop: Header=BB0_7 Depth=1
	v_mov_b32_e32 v1, 48
	s_mov_b32 s100, exec_lo
	v_cmpx_ngt_f64_e32 s[22:23], v[8:9]
	s_cbranch_execz .LBB0_5797
; %bb.5774:                             ;   in Loop: Header=BB0_7 Depth=1
	v_mov_b32_e32 v1, 44
	s_mov_b32 s101, exec_lo
	v_cmpx_ngt_f64_e32 s[20:21], v[8:9]
	s_cbranch_execz .LBB0_5796
; %bb.5775:                             ;   in Loop: Header=BB0_7 Depth=1
	v_mov_b32_e32 v1, 40
	s_mov_b32 s104, exec_lo
	v_cmpx_ngt_f64_e32 s[18:19], v[8:9]
	s_cbranch_execz .LBB0_5795
; %bb.5776:                             ;   in Loop: Header=BB0_7 Depth=1
	v_mov_b32_e32 v1, 36
	v_cmp_ngt_f64_e32 vcc_lo, s[16:17], v[8:9]
	s_mov_b32 vcc_hi, exec_lo
	s_delay_alu instid0(SALU_CYCLE_1)
	s_and_b32 vcc_lo, vcc_hi, vcc_lo
	v_writelane_b32 v18, vcc_hi, 0
	s_mov_b32 exec_lo, vcc_lo
	s_cbranch_execz .LBB0_5794
; %bb.5777:                             ;   in Loop: Header=BB0_7 Depth=1
	v_mov_b32_e32 v1, 32
	v_cmp_ngt_f64_e32 vcc_lo, s[50:51], v[8:9]
	s_mov_b32 vcc_hi, exec_lo
	s_delay_alu instid0(SALU_CYCLE_1)
	s_and_b32 vcc_lo, vcc_hi, vcc_lo
	v_writelane_b32 v18, vcc_hi, 1
	s_mov_b32 exec_lo, vcc_lo
	;; [unrolled: 9-line block ×8, first 2 shown]
	s_cbranch_execz .LBB0_5787
; %bb.5784:                             ;   in Loop: Header=BB0_7 Depth=1
	v_mov_b32_e32 v1, 0
	s_mov_b32 vcc_hi, exec_lo
	v_cmpx_gt_f64_e32 s[36:37], v[8:9]
; %bb.5785:                             ;   in Loop: Header=BB0_7 Depth=1
	v_mov_b32_e32 v1, 4
; %bb.5786:                             ;   in Loop: Header=BB0_7 Depth=1
	s_or_b32 exec_lo, exec_lo, vcc_hi
.LBB0_5787:                             ;   in Loop: Header=BB0_7 Depth=1
	s_delay_alu instid0(VALU_DEP_1)
	v_readlane_b32 vcc_lo, v18, 8
	s_or_b32 exec_lo, exec_lo, vcc_lo
.LBB0_5788:                             ;   in Loop: Header=BB0_7 Depth=1
	s_delay_alu instid0(VALU_DEP_1)
	v_readlane_b32 vcc_lo, v18, 6
	s_or_b32 exec_lo, exec_lo, vcc_lo
.LBB0_5789:                             ;   in Loop: Header=BB0_7 Depth=1
	s_delay_alu instid0(VALU_DEP_1)
	v_readlane_b32 vcc_lo, v18, 5
	s_or_b32 exec_lo, exec_lo, vcc_lo
.LBB0_5790:                             ;   in Loop: Header=BB0_7 Depth=1
	s_delay_alu instid0(VALU_DEP_1)
	v_readlane_b32 vcc_lo, v18, 4
	s_or_b32 exec_lo, exec_lo, vcc_lo
.LBB0_5791:                             ;   in Loop: Header=BB0_7 Depth=1
	s_delay_alu instid0(VALU_DEP_1)
	v_readlane_b32 vcc_lo, v18, 3
	s_or_b32 exec_lo, exec_lo, vcc_lo
.LBB0_5792:                             ;   in Loop: Header=BB0_7 Depth=1
	s_delay_alu instid0(VALU_DEP_1)
	v_readlane_b32 vcc_lo, v18, 2
	s_or_b32 exec_lo, exec_lo, vcc_lo
.LBB0_5793:                             ;   in Loop: Header=BB0_7 Depth=1
	s_delay_alu instid0(VALU_DEP_1)
	v_readlane_b32 vcc_lo, v18, 1
	s_or_b32 exec_lo, exec_lo, vcc_lo
.LBB0_5794:                             ;   in Loop: Header=BB0_7 Depth=1
	s_delay_alu instid0(VALU_DEP_1)
	v_readlane_b32 vcc_lo, v18, 0
	s_or_b32 exec_lo, exec_lo, vcc_lo
.LBB0_5795:                             ;   in Loop: Header=BB0_7 Depth=1
	s_delay_alu instid0(SALU_CYCLE_1)
	s_or_b32 exec_lo, exec_lo, s104
.LBB0_5796:                             ;   in Loop: Header=BB0_7 Depth=1
	s_delay_alu instid0(SALU_CYCLE_1)
	s_or_b32 exec_lo, exec_lo, s101
.LBB0_5797:                             ;   in Loop: Header=BB0_7 Depth=1
	s_delay_alu instid0(SALU_CYCLE_1)
	s_or_b32 exec_lo, exec_lo, s100
.LBB0_5798:                             ;   in Loop: Header=BB0_7 Depth=1
	s_delay_alu instid0(SALU_CYCLE_1)
	s_or_b32 exec_lo, exec_lo, s99
.LBB0_5799:                             ;   in Loop: Header=BB0_7 Depth=1
	s_delay_alu instid0(SALU_CYCLE_1)
	s_or_b32 exec_lo, exec_lo, s98
.LBB0_5800:                             ;   in Loop: Header=BB0_7 Depth=1
	s_delay_alu instid0(SALU_CYCLE_1)
	s_or_b32 exec_lo, exec_lo, s97
.LBB0_5801:                             ;   in Loop: Header=BB0_7 Depth=1
	s_delay_alu instid0(SALU_CYCLE_1)
	s_or_b32 exec_lo, exec_lo, s96
.LBB0_5802:                             ;   in Loop: Header=BB0_7 Depth=1
	s_delay_alu instid0(SALU_CYCLE_1)
	s_or_b32 exec_lo, exec_lo, s95
.LBB0_5803:                             ;   in Loop: Header=BB0_7 Depth=1
	s_delay_alu instid0(SALU_CYCLE_1)
	s_or_b32 exec_lo, exec_lo, s94
.LBB0_5804:                             ;   in Loop: Header=BB0_7 Depth=1
	s_delay_alu instid0(SALU_CYCLE_1)
	s_or_b32 exec_lo, exec_lo, s93
.LBB0_5805:                             ;   in Loop: Header=BB0_7 Depth=1
	s_delay_alu instid0(SALU_CYCLE_1)
	s_or_b32 exec_lo, exec_lo, s92
.LBB0_5806:                             ;   in Loop: Header=BB0_7 Depth=1
	s_delay_alu instid0(SALU_CYCLE_1)
	s_or_b32 exec_lo, exec_lo, s91
.LBB0_5807:                             ;   in Loop: Header=BB0_7 Depth=1
	s_delay_alu instid0(SALU_CYCLE_1)
	s_or_b32 exec_lo, exec_lo, s90
.LBB0_5808:                             ;   in Loop: Header=BB0_7 Depth=1
	s_delay_alu instid0(SALU_CYCLE_1)
	s_or_b32 exec_lo, exec_lo, s89
.LBB0_5809:                             ;   in Loop: Header=BB0_7 Depth=1
	s_delay_alu instid0(SALU_CYCLE_1)
	s_or_b32 exec_lo, exec_lo, s88
.LBB0_5810:                             ;   in Loop: Header=BB0_7 Depth=1
	s_delay_alu instid0(SALU_CYCLE_1)
	s_or_b32 exec_lo, exec_lo, s87
.LBB0_5811:                             ;   in Loop: Header=BB0_7 Depth=1
	s_delay_alu instid0(SALU_CYCLE_1)
	s_or_b32 exec_lo, exec_lo, s86
.LBB0_5812:                             ;   in Loop: Header=BB0_7 Depth=1
	s_delay_alu instid0(SALU_CYCLE_1)
	s_or_b32 exec_lo, exec_lo, s85
.LBB0_5813:                             ;   in Loop: Header=BB0_7 Depth=1
	s_delay_alu instid0(SALU_CYCLE_1)
	s_or_b32 exec_lo, exec_lo, s84
.LBB0_5814:                             ;   in Loop: Header=BB0_7 Depth=1
	s_delay_alu instid0(SALU_CYCLE_1)
	s_or_b32 exec_lo, exec_lo, s83
.LBB0_5815:                             ;   in Loop: Header=BB0_7 Depth=1
	s_delay_alu instid0(SALU_CYCLE_1)
	s_or_b32 exec_lo, exec_lo, s82
.LBB0_5816:                             ;   in Loop: Header=BB0_7 Depth=1
	s_delay_alu instid0(SALU_CYCLE_1)
	s_or_b32 exec_lo, exec_lo, s81
.LBB0_5817:                             ;   in Loop: Header=BB0_7 Depth=1
	s_delay_alu instid0(SALU_CYCLE_1) | instskip(SKIP_1) | instid1(SALU_CYCLE_1)
	s_or_b32 exec_lo, exec_lo, s80
	s_or_b32 s80, s33, 53
	v_cmp_ge_u32_e32 vcc_lo, s80, v0
	s_and_saveexec_b32 s80, vcc_lo
	s_delay_alu instid0(SALU_CYCLE_1)
	s_xor_b32 s80, exec_lo, s80
; %bb.5818:                             ;   in Loop: Header=BB0_7 Depth=1
	v_or_b32_e32 v1, 0x7c00, v1
; %bb.5819:                             ;   in Loop: Header=BB0_7 Depth=1
	s_and_not1_saveexec_b32 s80, s80
	s_cbranch_execz .LBB0_5943
; %bb.5820:                             ;   in Loop: Header=BB0_7 Depth=1
	s_add_co_i32 s81, s62, 0
	s_delay_alu instid0(SALU_CYCLE_1)
	v_mov_b32_e32 v8, s81
	s_mov_b32 s81, exec_lo
	ds_load_2addr_b64 v[12:15], v8 offset0:159 offset1:160
	ds_load_b64 v[16:17], v8 offset:1288
	s_wait_dscnt 0x1
	v_mul_f64_e32 v[8:9], v[4:5], v[14:15]
	s_delay_alu instid0(VALU_DEP_1) | instskip(SKIP_1) | instid1(VALU_DEP_1)
	v_fmac_f64_e32 v[8:9], v[2:3], v[12:13]
	s_wait_dscnt 0x0
	v_fmac_f64_e32 v[8:9], v[6:7], v[16:17]
	s_delay_alu instid0(VALU_DEP_1)
	v_cmpx_ngt_f64_e32 s[60:61], v[8:9]
	s_xor_b32 s81, exec_lo, s81
	s_cbranch_execz .LBB0_5940
; %bb.5821:                             ;   in Loop: Header=BB0_7 Depth=1
	s_mov_b32 s82, exec_lo
	v_cmpx_ngt_f64_e32 s[66:67], v[8:9]
	s_xor_b32 s82, exec_lo, s82
	s_cbranch_execz .LBB0_5937
; %bb.5822:                             ;   in Loop: Header=BB0_7 Depth=1
	s_mov_b32 s83, exec_lo
	v_cmpx_ngt_f64_e32 s[64:65], v[8:9]
	s_xor_b32 s83, exec_lo, s83
	s_cbranch_execz .LBB0_5934
; %bb.5823:                             ;   in Loop: Header=BB0_7 Depth=1
	s_mov_b32 s84, exec_lo
	v_cmpx_ngt_f64_e32 s[58:59], v[8:9]
	s_xor_b32 s84, exec_lo, s84
	s_cbranch_execz .LBB0_5931
; %bb.5824:                             ;   in Loop: Header=BB0_7 Depth=1
	s_mov_b32 s85, exec_lo
	v_cmpx_ngt_f64_e32 s[56:57], v[8:9]
	s_xor_b32 s85, exec_lo, s85
	s_cbranch_execz .LBB0_5928
; %bb.5825:                             ;   in Loop: Header=BB0_7 Depth=1
	s_mov_b32 s86, exec_lo
	v_cmpx_ngt_f64_e32 s[54:55], v[8:9]
	s_xor_b32 s86, exec_lo, s86
	s_cbranch_execz .LBB0_5925
; %bb.5826:                             ;   in Loop: Header=BB0_7 Depth=1
	s_mov_b32 s87, exec_lo
	v_cmpx_ngt_f64_e32 s[52:53], v[8:9]
	s_xor_b32 s87, exec_lo, s87
	s_cbranch_execz .LBB0_5922
; %bb.5827:                             ;   in Loop: Header=BB0_7 Depth=1
	s_mov_b32 s88, exec_lo
	v_cmpx_ngt_f64_e32 s[14:15], v[8:9]
	s_xor_b32 s88, exec_lo, s88
	s_cbranch_execz .LBB0_5919
; %bb.5828:                             ;   in Loop: Header=BB0_7 Depth=1
	s_mov_b32 s89, exec_lo
	v_cmpx_ngt_f64_e32 s[12:13], v[8:9]
	s_xor_b32 s89, exec_lo, s89
	s_cbranch_execz .LBB0_5916
; %bb.5829:                             ;   in Loop: Header=BB0_7 Depth=1
	s_mov_b32 s90, exec_lo
	v_cmpx_ngt_f64_e32 s[10:11], v[8:9]
	s_xor_b32 s90, exec_lo, s90
	s_cbranch_execz .LBB0_5913
; %bb.5830:                             ;   in Loop: Header=BB0_7 Depth=1
	s_mov_b32 s91, exec_lo
	v_cmpx_ngt_f64_e32 s[8:9], v[8:9]
	s_xor_b32 s91, exec_lo, s91
	s_cbranch_execz .LBB0_5910
; %bb.5831:                             ;   in Loop: Header=BB0_7 Depth=1
	s_mov_b32 s92, exec_lo
	v_cmpx_ngt_f64_e32 s[6:7], v[8:9]
	s_xor_b32 s92, exec_lo, s92
	s_cbranch_execz .LBB0_5907
; %bb.5832:                             ;   in Loop: Header=BB0_7 Depth=1
	s_mov_b32 s93, exec_lo
	v_cmpx_ngt_f64_e32 s[4:5], v[8:9]
	s_xor_b32 s93, exec_lo, s93
	s_cbranch_execz .LBB0_5904
; %bb.5833:                             ;   in Loop: Header=BB0_7 Depth=1
	s_mov_b32 s94, exec_lo
	v_cmpx_ngt_f64_e32 s[2:3], v[8:9]
	s_xor_b32 s94, exec_lo, s94
	s_cbranch_execz .LBB0_5901
; %bb.5834:                             ;   in Loop: Header=BB0_7 Depth=1
	s_mov_b32 s95, exec_lo
	v_cmpx_ngt_f64_e32 s[0:1], v[8:9]
	s_xor_b32 s95, exec_lo, s95
	s_cbranch_execz .LBB0_5898
; %bb.5835:                             ;   in Loop: Header=BB0_7 Depth=1
	s_mov_b32 s96, exec_lo
	v_cmpx_ngt_f64_e32 s[30:31], v[8:9]
	s_xor_b32 s96, exec_lo, s96
	s_cbranch_execz .LBB0_5895
; %bb.5836:                             ;   in Loop: Header=BB0_7 Depth=1
	s_mov_b32 s97, exec_lo
	v_cmpx_ngt_f64_e32 s[28:29], v[8:9]
	s_xor_b32 s97, exec_lo, s97
	s_cbranch_execz .LBB0_5892
; %bb.5837:                             ;   in Loop: Header=BB0_7 Depth=1
	s_mov_b32 s98, exec_lo
	v_cmpx_ngt_f64_e32 s[26:27], v[8:9]
	s_xor_b32 s98, exec_lo, s98
	s_cbranch_execz .LBB0_5889
; %bb.5838:                             ;   in Loop: Header=BB0_7 Depth=1
	s_mov_b32 s99, exec_lo
	v_cmpx_ngt_f64_e32 s[24:25], v[8:9]
	s_xor_b32 s99, exec_lo, s99
	s_cbranch_execz .LBB0_5886
; %bb.5839:                             ;   in Loop: Header=BB0_7 Depth=1
	s_mov_b32 s100, exec_lo
	v_cmpx_ngt_f64_e32 s[22:23], v[8:9]
	s_xor_b32 s100, exec_lo, s100
	s_cbranch_execz .LBB0_5883
; %bb.5840:                             ;   in Loop: Header=BB0_7 Depth=1
	s_mov_b32 s101, exec_lo
	v_cmpx_ngt_f64_e32 s[20:21], v[8:9]
	s_xor_b32 s101, exec_lo, s101
	s_cbranch_execz .LBB0_5880
; %bb.5841:                             ;   in Loop: Header=BB0_7 Depth=1
	s_mov_b32 s104, exec_lo
	v_cmpx_ngt_f64_e32 s[18:19], v[8:9]
	s_xor_b32 s104, exec_lo, s104
	s_cbranch_execz .LBB0_5877
; %bb.5842:                             ;   in Loop: Header=BB0_7 Depth=1
	s_mov_b32 vcc_hi, exec_lo
	v_cmpx_ngt_f64_e32 s[16:17], v[8:9]
	s_xor_b32 vcc_hi, exec_lo, vcc_hi
	s_delay_alu instid0(SALU_CYCLE_1)
	v_writelane_b32 v18, vcc_hi, 0
	s_cbranch_execz .LBB0_5874
; %bb.5843:                             ;   in Loop: Header=BB0_7 Depth=1
	s_mov_b32 vcc_hi, exec_lo
	v_cmpx_ngt_f64_e32 s[50:51], v[8:9]
	s_xor_b32 vcc_hi, exec_lo, vcc_hi
	s_delay_alu instid0(SALU_CYCLE_1)
	v_writelane_b32 v18, vcc_hi, 1
	;; [unrolled: 7-line block ×8, first 2 shown]
	s_cbranch_execz .LBB0_5853
; %bb.5850:                             ;   in Loop: Header=BB0_7 Depth=1
	s_mov_b32 vcc_lo, exec_lo
	v_cmpx_gt_f64_e32 s[36:37], v[8:9]
; %bb.5851:                             ;   in Loop: Header=BB0_7 Depth=1
	v_or_b32_e32 v1, 0x400, v1
; %bb.5852:                             ;   in Loop: Header=BB0_7 Depth=1
	s_or_b32 exec_lo, exec_lo, vcc_lo
.LBB0_5853:                             ;   in Loop: Header=BB0_7 Depth=1
	s_delay_alu instid0(VALU_DEP_1)
	v_readlane_b32 vcc_lo, v18, 8
	s_and_not1_saveexec_b32 vcc_lo, vcc_lo
; %bb.5854:                             ;   in Loop: Header=BB0_7 Depth=1
	v_or_b32_e32 v1, 0x800, v1
; %bb.5855:                             ;   in Loop: Header=BB0_7 Depth=1
	s_or_b32 exec_lo, exec_lo, vcc_lo
.LBB0_5856:                             ;   in Loop: Header=BB0_7 Depth=1
	s_delay_alu instid0(VALU_DEP_1)
	v_readlane_b32 vcc_lo, v18, 6
	s_and_not1_saveexec_b32 vcc_lo, vcc_lo
; %bb.5857:                             ;   in Loop: Header=BB0_7 Depth=1
	v_or_b32_e32 v1, 0xc00, v1
; %bb.5858:                             ;   in Loop: Header=BB0_7 Depth=1
	s_or_b32 exec_lo, exec_lo, vcc_lo
.LBB0_5859:                             ;   in Loop: Header=BB0_7 Depth=1
	s_delay_alu instid0(VALU_DEP_1)
	v_readlane_b32 vcc_lo, v18, 5
	s_and_not1_saveexec_b32 vcc_lo, vcc_lo
; %bb.5860:                             ;   in Loop: Header=BB0_7 Depth=1
	v_or_b32_e32 v1, 0x1000, v1
; %bb.5861:                             ;   in Loop: Header=BB0_7 Depth=1
	s_or_b32 exec_lo, exec_lo, vcc_lo
.LBB0_5862:                             ;   in Loop: Header=BB0_7 Depth=1
	s_delay_alu instid0(VALU_DEP_1)
	v_readlane_b32 vcc_lo, v18, 4
	s_and_not1_saveexec_b32 vcc_lo, vcc_lo
; %bb.5863:                             ;   in Loop: Header=BB0_7 Depth=1
	v_or_b32_e32 v1, 0x1400, v1
; %bb.5864:                             ;   in Loop: Header=BB0_7 Depth=1
	s_or_b32 exec_lo, exec_lo, vcc_lo
.LBB0_5865:                             ;   in Loop: Header=BB0_7 Depth=1
	s_delay_alu instid0(VALU_DEP_1)
	v_readlane_b32 vcc_lo, v18, 3
	s_and_not1_saveexec_b32 vcc_lo, vcc_lo
; %bb.5866:                             ;   in Loop: Header=BB0_7 Depth=1
	v_or_b32_e32 v1, 0x1800, v1
; %bb.5867:                             ;   in Loop: Header=BB0_7 Depth=1
	s_or_b32 exec_lo, exec_lo, vcc_lo
.LBB0_5868:                             ;   in Loop: Header=BB0_7 Depth=1
	s_delay_alu instid0(VALU_DEP_1)
	v_readlane_b32 vcc_lo, v18, 2
	s_and_not1_saveexec_b32 vcc_lo, vcc_lo
; %bb.5869:                             ;   in Loop: Header=BB0_7 Depth=1
	v_or_b32_e32 v1, 0x1c00, v1
; %bb.5870:                             ;   in Loop: Header=BB0_7 Depth=1
	s_or_b32 exec_lo, exec_lo, vcc_lo
.LBB0_5871:                             ;   in Loop: Header=BB0_7 Depth=1
	s_delay_alu instid0(VALU_DEP_1)
	v_readlane_b32 vcc_lo, v18, 1
	s_and_not1_saveexec_b32 vcc_lo, vcc_lo
; %bb.5872:                             ;   in Loop: Header=BB0_7 Depth=1
	v_or_b32_e32 v1, 0x2000, v1
; %bb.5873:                             ;   in Loop: Header=BB0_7 Depth=1
	s_or_b32 exec_lo, exec_lo, vcc_lo
.LBB0_5874:                             ;   in Loop: Header=BB0_7 Depth=1
	s_delay_alu instid0(VALU_DEP_1)
	v_readlane_b32 vcc_lo, v18, 0
	s_and_not1_saveexec_b32 vcc_lo, vcc_lo
; %bb.5875:                             ;   in Loop: Header=BB0_7 Depth=1
	v_or_b32_e32 v1, 0x2400, v1
; %bb.5876:                             ;   in Loop: Header=BB0_7 Depth=1
	s_or_b32 exec_lo, exec_lo, vcc_lo
.LBB0_5877:                             ;   in Loop: Header=BB0_7 Depth=1
	s_and_not1_saveexec_b32 s104, s104
; %bb.5878:                             ;   in Loop: Header=BB0_7 Depth=1
	s_delay_alu instid0(VALU_DEP_1)
	v_or_b32_e32 v1, 0x2800, v1
; %bb.5879:                             ;   in Loop: Header=BB0_7 Depth=1
	s_or_b32 exec_lo, exec_lo, s104
.LBB0_5880:                             ;   in Loop: Header=BB0_7 Depth=1
	s_and_not1_saveexec_b32 s101, s101
; %bb.5881:                             ;   in Loop: Header=BB0_7 Depth=1
	s_delay_alu instid0(VALU_DEP_1)
	v_or_b32_e32 v1, 0x2c00, v1
; %bb.5882:                             ;   in Loop: Header=BB0_7 Depth=1
	s_or_b32 exec_lo, exec_lo, s101
.LBB0_5883:                             ;   in Loop: Header=BB0_7 Depth=1
	s_and_not1_saveexec_b32 s100, s100
; %bb.5884:                             ;   in Loop: Header=BB0_7 Depth=1
	s_delay_alu instid0(VALU_DEP_1)
	v_or_b32_e32 v1, 0x3000, v1
; %bb.5885:                             ;   in Loop: Header=BB0_7 Depth=1
	s_or_b32 exec_lo, exec_lo, s100
.LBB0_5886:                             ;   in Loop: Header=BB0_7 Depth=1
	s_and_not1_saveexec_b32 s99, s99
; %bb.5887:                             ;   in Loop: Header=BB0_7 Depth=1
	s_delay_alu instid0(VALU_DEP_1)
	v_or_b32_e32 v1, 0x3400, v1
; %bb.5888:                             ;   in Loop: Header=BB0_7 Depth=1
	s_or_b32 exec_lo, exec_lo, s99
.LBB0_5889:                             ;   in Loop: Header=BB0_7 Depth=1
	s_and_not1_saveexec_b32 s98, s98
; %bb.5890:                             ;   in Loop: Header=BB0_7 Depth=1
	s_delay_alu instid0(VALU_DEP_1)
	v_or_b32_e32 v1, 0x3800, v1
; %bb.5891:                             ;   in Loop: Header=BB0_7 Depth=1
	s_or_b32 exec_lo, exec_lo, s98
.LBB0_5892:                             ;   in Loop: Header=BB0_7 Depth=1
	s_and_not1_saveexec_b32 s97, s97
; %bb.5893:                             ;   in Loop: Header=BB0_7 Depth=1
	s_delay_alu instid0(VALU_DEP_1)
	v_or_b32_e32 v1, 0x3c00, v1
; %bb.5894:                             ;   in Loop: Header=BB0_7 Depth=1
	s_or_b32 exec_lo, exec_lo, s97
.LBB0_5895:                             ;   in Loop: Header=BB0_7 Depth=1
	s_and_not1_saveexec_b32 s96, s96
; %bb.5896:                             ;   in Loop: Header=BB0_7 Depth=1
	s_delay_alu instid0(VALU_DEP_1)
	v_or_b32_e32 v1, 0x4000, v1
; %bb.5897:                             ;   in Loop: Header=BB0_7 Depth=1
	s_or_b32 exec_lo, exec_lo, s96
.LBB0_5898:                             ;   in Loop: Header=BB0_7 Depth=1
	s_and_not1_saveexec_b32 s95, s95
; %bb.5899:                             ;   in Loop: Header=BB0_7 Depth=1
	s_delay_alu instid0(VALU_DEP_1)
	v_or_b32_e32 v1, 0x4400, v1
; %bb.5900:                             ;   in Loop: Header=BB0_7 Depth=1
	s_or_b32 exec_lo, exec_lo, s95
.LBB0_5901:                             ;   in Loop: Header=BB0_7 Depth=1
	s_and_not1_saveexec_b32 s94, s94
; %bb.5902:                             ;   in Loop: Header=BB0_7 Depth=1
	s_delay_alu instid0(VALU_DEP_1)
	v_or_b32_e32 v1, 0x4800, v1
; %bb.5903:                             ;   in Loop: Header=BB0_7 Depth=1
	s_or_b32 exec_lo, exec_lo, s94
.LBB0_5904:                             ;   in Loop: Header=BB0_7 Depth=1
	s_and_not1_saveexec_b32 s93, s93
; %bb.5905:                             ;   in Loop: Header=BB0_7 Depth=1
	s_delay_alu instid0(VALU_DEP_1)
	v_or_b32_e32 v1, 0x4c00, v1
; %bb.5906:                             ;   in Loop: Header=BB0_7 Depth=1
	s_or_b32 exec_lo, exec_lo, s93
.LBB0_5907:                             ;   in Loop: Header=BB0_7 Depth=1
	s_and_not1_saveexec_b32 s92, s92
; %bb.5908:                             ;   in Loop: Header=BB0_7 Depth=1
	s_delay_alu instid0(VALU_DEP_1)
	v_or_b32_e32 v1, 0x5000, v1
; %bb.5909:                             ;   in Loop: Header=BB0_7 Depth=1
	s_or_b32 exec_lo, exec_lo, s92
.LBB0_5910:                             ;   in Loop: Header=BB0_7 Depth=1
	s_and_not1_saveexec_b32 s91, s91
; %bb.5911:                             ;   in Loop: Header=BB0_7 Depth=1
	s_delay_alu instid0(VALU_DEP_1)
	v_or_b32_e32 v1, 0x5400, v1
; %bb.5912:                             ;   in Loop: Header=BB0_7 Depth=1
	s_or_b32 exec_lo, exec_lo, s91
.LBB0_5913:                             ;   in Loop: Header=BB0_7 Depth=1
	s_and_not1_saveexec_b32 s90, s90
; %bb.5914:                             ;   in Loop: Header=BB0_7 Depth=1
	s_delay_alu instid0(VALU_DEP_1)
	v_or_b32_e32 v1, 0x5800, v1
; %bb.5915:                             ;   in Loop: Header=BB0_7 Depth=1
	s_or_b32 exec_lo, exec_lo, s90
.LBB0_5916:                             ;   in Loop: Header=BB0_7 Depth=1
	s_and_not1_saveexec_b32 s89, s89
; %bb.5917:                             ;   in Loop: Header=BB0_7 Depth=1
	s_delay_alu instid0(VALU_DEP_1)
	v_or_b32_e32 v1, 0x5c00, v1
; %bb.5918:                             ;   in Loop: Header=BB0_7 Depth=1
	s_or_b32 exec_lo, exec_lo, s89
.LBB0_5919:                             ;   in Loop: Header=BB0_7 Depth=1
	s_and_not1_saveexec_b32 s88, s88
; %bb.5920:                             ;   in Loop: Header=BB0_7 Depth=1
	s_delay_alu instid0(VALU_DEP_1)
	v_or_b32_e32 v1, 0x6000, v1
; %bb.5921:                             ;   in Loop: Header=BB0_7 Depth=1
	s_or_b32 exec_lo, exec_lo, s88
.LBB0_5922:                             ;   in Loop: Header=BB0_7 Depth=1
	s_and_not1_saveexec_b32 s87, s87
; %bb.5923:                             ;   in Loop: Header=BB0_7 Depth=1
	s_delay_alu instid0(VALU_DEP_1)
	v_or_b32_e32 v1, 0x6400, v1
; %bb.5924:                             ;   in Loop: Header=BB0_7 Depth=1
	s_or_b32 exec_lo, exec_lo, s87
.LBB0_5925:                             ;   in Loop: Header=BB0_7 Depth=1
	s_and_not1_saveexec_b32 s86, s86
; %bb.5926:                             ;   in Loop: Header=BB0_7 Depth=1
	s_delay_alu instid0(VALU_DEP_1)
	v_or_b32_e32 v1, 0x6800, v1
; %bb.5927:                             ;   in Loop: Header=BB0_7 Depth=1
	s_or_b32 exec_lo, exec_lo, s86
.LBB0_5928:                             ;   in Loop: Header=BB0_7 Depth=1
	s_and_not1_saveexec_b32 s85, s85
; %bb.5929:                             ;   in Loop: Header=BB0_7 Depth=1
	s_delay_alu instid0(VALU_DEP_1)
	v_or_b32_e32 v1, 0x6c00, v1
; %bb.5930:                             ;   in Loop: Header=BB0_7 Depth=1
	s_or_b32 exec_lo, exec_lo, s85
.LBB0_5931:                             ;   in Loop: Header=BB0_7 Depth=1
	s_and_not1_saveexec_b32 s84, s84
; %bb.5932:                             ;   in Loop: Header=BB0_7 Depth=1
	s_delay_alu instid0(VALU_DEP_1)
	v_or_b32_e32 v1, 0x7000, v1
; %bb.5933:                             ;   in Loop: Header=BB0_7 Depth=1
	s_or_b32 exec_lo, exec_lo, s84
.LBB0_5934:                             ;   in Loop: Header=BB0_7 Depth=1
	s_and_not1_saveexec_b32 s83, s83
; %bb.5935:                             ;   in Loop: Header=BB0_7 Depth=1
	s_delay_alu instid0(VALU_DEP_1)
	v_or_b32_e32 v1, 0x7400, v1
; %bb.5936:                             ;   in Loop: Header=BB0_7 Depth=1
	s_or_b32 exec_lo, exec_lo, s83
.LBB0_5937:                             ;   in Loop: Header=BB0_7 Depth=1
	s_and_not1_saveexec_b32 s82, s82
; %bb.5938:                             ;   in Loop: Header=BB0_7 Depth=1
	s_delay_alu instid0(VALU_DEP_1)
	v_or_b32_e32 v1, 0x7800, v1
; %bb.5939:                             ;   in Loop: Header=BB0_7 Depth=1
	s_or_b32 exec_lo, exec_lo, s82
.LBB0_5940:                             ;   in Loop: Header=BB0_7 Depth=1
	s_and_not1_saveexec_b32 s81, s81
; %bb.5941:                             ;   in Loop: Header=BB0_7 Depth=1
	s_delay_alu instid0(VALU_DEP_1)
	v_or_b32_e32 v1, 0x7c00, v1
; %bb.5942:                             ;   in Loop: Header=BB0_7 Depth=1
	s_or_b32 exec_lo, exec_lo, s81
.LBB0_5943:                             ;   in Loop: Header=BB0_7 Depth=1
	s_delay_alu instid0(SALU_CYCLE_1) | instskip(SKIP_1) | instid1(SALU_CYCLE_1)
	s_or_b32 exec_lo, exec_lo, s80
	s_or_b32 s80, s33, 54
	v_cmp_ge_u32_e32 vcc_lo, s80, v0
	s_and_saveexec_b32 s80, vcc_lo
	s_delay_alu instid0(SALU_CYCLE_1)
	s_xor_b32 s80, exec_lo, s80
; %bb.5944:                             ;   in Loop: Header=BB0_7 Depth=1
	v_add_nc_u32_e32 v1, 0x7c0000, v1
; %bb.5945:                             ;   in Loop: Header=BB0_7 Depth=1
	s_and_not1_saveexec_b32 s80, s80
	s_cbranch_execz .LBB0_6069
; %bb.5946:                             ;   in Loop: Header=BB0_7 Depth=1
	s_add_co_i32 s81, s62, 0
	s_delay_alu instid0(SALU_CYCLE_1)
	v_mov_b32_e32 v8, s81
	s_mov_b32 s81, exec_lo
	ds_load_2addr_b64 v[12:15], v8 offset0:162 offset1:163
	ds_load_b64 v[16:17], v8 offset:1312
	s_wait_dscnt 0x1
	v_mul_f64_e32 v[8:9], v[4:5], v[14:15]
	s_delay_alu instid0(VALU_DEP_1) | instskip(SKIP_1) | instid1(VALU_DEP_1)
	v_fmac_f64_e32 v[8:9], v[2:3], v[12:13]
	s_wait_dscnt 0x0
	v_fmac_f64_e32 v[8:9], v[6:7], v[16:17]
	s_delay_alu instid0(VALU_DEP_1)
	v_cmpx_ngt_f64_e32 s[60:61], v[8:9]
	s_xor_b32 s81, exec_lo, s81
	s_cbranch_execz .LBB0_6066
; %bb.5947:                             ;   in Loop: Header=BB0_7 Depth=1
	s_mov_b32 s82, exec_lo
	v_cmpx_ngt_f64_e32 s[66:67], v[8:9]
	s_xor_b32 s82, exec_lo, s82
	s_cbranch_execz .LBB0_6063
; %bb.5948:                             ;   in Loop: Header=BB0_7 Depth=1
	s_mov_b32 s83, exec_lo
	;; [unrolled: 5-line block ×21, first 2 shown]
	v_cmpx_ngt_f64_e32 s[18:19], v[8:9]
	s_xor_b32 s104, exec_lo, s104
	s_cbranch_execz .LBB0_6003
; %bb.5968:                             ;   in Loop: Header=BB0_7 Depth=1
	s_mov_b32 vcc_hi, exec_lo
	v_cmpx_ngt_f64_e32 s[16:17], v[8:9]
	s_xor_b32 vcc_hi, exec_lo, vcc_hi
	s_delay_alu instid0(SALU_CYCLE_1)
	v_writelane_b32 v18, vcc_hi, 0
	s_cbranch_execz .LBB0_6000
; %bb.5969:                             ;   in Loop: Header=BB0_7 Depth=1
	s_mov_b32 vcc_hi, exec_lo
	v_cmpx_ngt_f64_e32 s[50:51], v[8:9]
	s_xor_b32 vcc_hi, exec_lo, vcc_hi
	s_delay_alu instid0(SALU_CYCLE_1)
	v_writelane_b32 v18, vcc_hi, 1
	;; [unrolled: 7-line block ×8, first 2 shown]
	s_cbranch_execz .LBB0_5979
; %bb.5976:                             ;   in Loop: Header=BB0_7 Depth=1
	s_mov_b32 vcc_lo, exec_lo
	v_cmpx_gt_f64_e32 s[36:37], v[8:9]
; %bb.5977:                             ;   in Loop: Header=BB0_7 Depth=1
	v_add_nc_u32_e32 v1, 0x40000, v1
; %bb.5978:                             ;   in Loop: Header=BB0_7 Depth=1
	s_or_b32 exec_lo, exec_lo, vcc_lo
.LBB0_5979:                             ;   in Loop: Header=BB0_7 Depth=1
	s_delay_alu instid0(VALU_DEP_1)
	v_readlane_b32 vcc_lo, v18, 8
	s_and_not1_saveexec_b32 vcc_lo, vcc_lo
; %bb.5980:                             ;   in Loop: Header=BB0_7 Depth=1
	v_add_nc_u32_e32 v1, 0x80000, v1
; %bb.5981:                             ;   in Loop: Header=BB0_7 Depth=1
	s_or_b32 exec_lo, exec_lo, vcc_lo
.LBB0_5982:                             ;   in Loop: Header=BB0_7 Depth=1
	s_delay_alu instid0(VALU_DEP_1)
	v_readlane_b32 vcc_lo, v18, 6
	s_and_not1_saveexec_b32 vcc_lo, vcc_lo
; %bb.5983:                             ;   in Loop: Header=BB0_7 Depth=1
	v_add_nc_u32_e32 v1, 0xc0000, v1
; %bb.5984:                             ;   in Loop: Header=BB0_7 Depth=1
	s_or_b32 exec_lo, exec_lo, vcc_lo
.LBB0_5985:                             ;   in Loop: Header=BB0_7 Depth=1
	s_delay_alu instid0(VALU_DEP_1)
	v_readlane_b32 vcc_lo, v18, 5
	s_and_not1_saveexec_b32 vcc_lo, vcc_lo
; %bb.5986:                             ;   in Loop: Header=BB0_7 Depth=1
	v_add_nc_u32_e32 v1, 0x100000, v1
; %bb.5987:                             ;   in Loop: Header=BB0_7 Depth=1
	s_or_b32 exec_lo, exec_lo, vcc_lo
.LBB0_5988:                             ;   in Loop: Header=BB0_7 Depth=1
	s_delay_alu instid0(VALU_DEP_1)
	v_readlane_b32 vcc_lo, v18, 4
	s_and_not1_saveexec_b32 vcc_lo, vcc_lo
; %bb.5989:                             ;   in Loop: Header=BB0_7 Depth=1
	v_add_nc_u32_e32 v1, 0x140000, v1
; %bb.5990:                             ;   in Loop: Header=BB0_7 Depth=1
	s_or_b32 exec_lo, exec_lo, vcc_lo
.LBB0_5991:                             ;   in Loop: Header=BB0_7 Depth=1
	s_delay_alu instid0(VALU_DEP_1)
	v_readlane_b32 vcc_lo, v18, 3
	s_and_not1_saveexec_b32 vcc_lo, vcc_lo
; %bb.5992:                             ;   in Loop: Header=BB0_7 Depth=1
	v_add_nc_u32_e32 v1, 0x180000, v1
; %bb.5993:                             ;   in Loop: Header=BB0_7 Depth=1
	s_or_b32 exec_lo, exec_lo, vcc_lo
.LBB0_5994:                             ;   in Loop: Header=BB0_7 Depth=1
	s_delay_alu instid0(VALU_DEP_1)
	v_readlane_b32 vcc_lo, v18, 2
	s_and_not1_saveexec_b32 vcc_lo, vcc_lo
; %bb.5995:                             ;   in Loop: Header=BB0_7 Depth=1
	v_add_nc_u32_e32 v1, 0x1c0000, v1
; %bb.5996:                             ;   in Loop: Header=BB0_7 Depth=1
	s_or_b32 exec_lo, exec_lo, vcc_lo
.LBB0_5997:                             ;   in Loop: Header=BB0_7 Depth=1
	s_delay_alu instid0(VALU_DEP_1)
	v_readlane_b32 vcc_lo, v18, 1
	s_and_not1_saveexec_b32 vcc_lo, vcc_lo
; %bb.5998:                             ;   in Loop: Header=BB0_7 Depth=1
	v_add_nc_u32_e32 v1, 0x200000, v1
; %bb.5999:                             ;   in Loop: Header=BB0_7 Depth=1
	s_or_b32 exec_lo, exec_lo, vcc_lo
.LBB0_6000:                             ;   in Loop: Header=BB0_7 Depth=1
	s_delay_alu instid0(VALU_DEP_1)
	v_readlane_b32 vcc_lo, v18, 0
	s_and_not1_saveexec_b32 vcc_lo, vcc_lo
; %bb.6001:                             ;   in Loop: Header=BB0_7 Depth=1
	v_add_nc_u32_e32 v1, 0x240000, v1
; %bb.6002:                             ;   in Loop: Header=BB0_7 Depth=1
	s_or_b32 exec_lo, exec_lo, vcc_lo
.LBB0_6003:                             ;   in Loop: Header=BB0_7 Depth=1
	s_and_not1_saveexec_b32 s104, s104
; %bb.6004:                             ;   in Loop: Header=BB0_7 Depth=1
	s_delay_alu instid0(VALU_DEP_1)
	v_add_nc_u32_e32 v1, 0x280000, v1
; %bb.6005:                             ;   in Loop: Header=BB0_7 Depth=1
	s_or_b32 exec_lo, exec_lo, s104
.LBB0_6006:                             ;   in Loop: Header=BB0_7 Depth=1
	s_and_not1_saveexec_b32 s101, s101
; %bb.6007:                             ;   in Loop: Header=BB0_7 Depth=1
	s_delay_alu instid0(VALU_DEP_1)
	v_add_nc_u32_e32 v1, 0x2c0000, v1
; %bb.6008:                             ;   in Loop: Header=BB0_7 Depth=1
	s_or_b32 exec_lo, exec_lo, s101
.LBB0_6009:                             ;   in Loop: Header=BB0_7 Depth=1
	s_and_not1_saveexec_b32 s100, s100
; %bb.6010:                             ;   in Loop: Header=BB0_7 Depth=1
	s_delay_alu instid0(VALU_DEP_1)
	v_add_nc_u32_e32 v1, 0x300000, v1
; %bb.6011:                             ;   in Loop: Header=BB0_7 Depth=1
	s_or_b32 exec_lo, exec_lo, s100
.LBB0_6012:                             ;   in Loop: Header=BB0_7 Depth=1
	s_and_not1_saveexec_b32 s99, s99
; %bb.6013:                             ;   in Loop: Header=BB0_7 Depth=1
	s_delay_alu instid0(VALU_DEP_1)
	v_add_nc_u32_e32 v1, 0x340000, v1
; %bb.6014:                             ;   in Loop: Header=BB0_7 Depth=1
	s_or_b32 exec_lo, exec_lo, s99
.LBB0_6015:                             ;   in Loop: Header=BB0_7 Depth=1
	s_and_not1_saveexec_b32 s98, s98
; %bb.6016:                             ;   in Loop: Header=BB0_7 Depth=1
	s_delay_alu instid0(VALU_DEP_1)
	v_add_nc_u32_e32 v1, 0x380000, v1
; %bb.6017:                             ;   in Loop: Header=BB0_7 Depth=1
	s_or_b32 exec_lo, exec_lo, s98
.LBB0_6018:                             ;   in Loop: Header=BB0_7 Depth=1
	s_and_not1_saveexec_b32 s97, s97
; %bb.6019:                             ;   in Loop: Header=BB0_7 Depth=1
	s_delay_alu instid0(VALU_DEP_1)
	v_add_nc_u32_e32 v1, 0x3c0000, v1
; %bb.6020:                             ;   in Loop: Header=BB0_7 Depth=1
	s_or_b32 exec_lo, exec_lo, s97
.LBB0_6021:                             ;   in Loop: Header=BB0_7 Depth=1
	s_and_not1_saveexec_b32 s96, s96
; %bb.6022:                             ;   in Loop: Header=BB0_7 Depth=1
	s_delay_alu instid0(VALU_DEP_1)
	v_add_nc_u32_e32 v1, 0x400000, v1
; %bb.6023:                             ;   in Loop: Header=BB0_7 Depth=1
	s_or_b32 exec_lo, exec_lo, s96
.LBB0_6024:                             ;   in Loop: Header=BB0_7 Depth=1
	s_and_not1_saveexec_b32 s95, s95
; %bb.6025:                             ;   in Loop: Header=BB0_7 Depth=1
	s_delay_alu instid0(VALU_DEP_1)
	v_add_nc_u32_e32 v1, 0x440000, v1
; %bb.6026:                             ;   in Loop: Header=BB0_7 Depth=1
	s_or_b32 exec_lo, exec_lo, s95
.LBB0_6027:                             ;   in Loop: Header=BB0_7 Depth=1
	s_and_not1_saveexec_b32 s94, s94
; %bb.6028:                             ;   in Loop: Header=BB0_7 Depth=1
	s_delay_alu instid0(VALU_DEP_1)
	v_add_nc_u32_e32 v1, 0x480000, v1
; %bb.6029:                             ;   in Loop: Header=BB0_7 Depth=1
	s_or_b32 exec_lo, exec_lo, s94
.LBB0_6030:                             ;   in Loop: Header=BB0_7 Depth=1
	s_and_not1_saveexec_b32 s93, s93
; %bb.6031:                             ;   in Loop: Header=BB0_7 Depth=1
	s_delay_alu instid0(VALU_DEP_1)
	v_add_nc_u32_e32 v1, 0x4c0000, v1
; %bb.6032:                             ;   in Loop: Header=BB0_7 Depth=1
	s_or_b32 exec_lo, exec_lo, s93
.LBB0_6033:                             ;   in Loop: Header=BB0_7 Depth=1
	s_and_not1_saveexec_b32 s92, s92
; %bb.6034:                             ;   in Loop: Header=BB0_7 Depth=1
	s_delay_alu instid0(VALU_DEP_1)
	v_add_nc_u32_e32 v1, 0x500000, v1
; %bb.6035:                             ;   in Loop: Header=BB0_7 Depth=1
	s_or_b32 exec_lo, exec_lo, s92
.LBB0_6036:                             ;   in Loop: Header=BB0_7 Depth=1
	s_and_not1_saveexec_b32 s91, s91
; %bb.6037:                             ;   in Loop: Header=BB0_7 Depth=1
	s_delay_alu instid0(VALU_DEP_1)
	v_add_nc_u32_e32 v1, 0x540000, v1
; %bb.6038:                             ;   in Loop: Header=BB0_7 Depth=1
	s_or_b32 exec_lo, exec_lo, s91
.LBB0_6039:                             ;   in Loop: Header=BB0_7 Depth=1
	s_and_not1_saveexec_b32 s90, s90
; %bb.6040:                             ;   in Loop: Header=BB0_7 Depth=1
	s_delay_alu instid0(VALU_DEP_1)
	v_add_nc_u32_e32 v1, 0x580000, v1
; %bb.6041:                             ;   in Loop: Header=BB0_7 Depth=1
	s_or_b32 exec_lo, exec_lo, s90
.LBB0_6042:                             ;   in Loop: Header=BB0_7 Depth=1
	s_and_not1_saveexec_b32 s89, s89
; %bb.6043:                             ;   in Loop: Header=BB0_7 Depth=1
	s_delay_alu instid0(VALU_DEP_1)
	v_add_nc_u32_e32 v1, 0x5c0000, v1
; %bb.6044:                             ;   in Loop: Header=BB0_7 Depth=1
	s_or_b32 exec_lo, exec_lo, s89
.LBB0_6045:                             ;   in Loop: Header=BB0_7 Depth=1
	s_and_not1_saveexec_b32 s88, s88
; %bb.6046:                             ;   in Loop: Header=BB0_7 Depth=1
	s_delay_alu instid0(VALU_DEP_1)
	v_add_nc_u32_e32 v1, 0x600000, v1
; %bb.6047:                             ;   in Loop: Header=BB0_7 Depth=1
	s_or_b32 exec_lo, exec_lo, s88
.LBB0_6048:                             ;   in Loop: Header=BB0_7 Depth=1
	s_and_not1_saveexec_b32 s87, s87
; %bb.6049:                             ;   in Loop: Header=BB0_7 Depth=1
	s_delay_alu instid0(VALU_DEP_1)
	v_add_nc_u32_e32 v1, 0x640000, v1
; %bb.6050:                             ;   in Loop: Header=BB0_7 Depth=1
	s_or_b32 exec_lo, exec_lo, s87
.LBB0_6051:                             ;   in Loop: Header=BB0_7 Depth=1
	s_and_not1_saveexec_b32 s86, s86
; %bb.6052:                             ;   in Loop: Header=BB0_7 Depth=1
	s_delay_alu instid0(VALU_DEP_1)
	v_add_nc_u32_e32 v1, 0x680000, v1
; %bb.6053:                             ;   in Loop: Header=BB0_7 Depth=1
	s_or_b32 exec_lo, exec_lo, s86
.LBB0_6054:                             ;   in Loop: Header=BB0_7 Depth=1
	s_and_not1_saveexec_b32 s85, s85
; %bb.6055:                             ;   in Loop: Header=BB0_7 Depth=1
	s_delay_alu instid0(VALU_DEP_1)
	v_add_nc_u32_e32 v1, 0x6c0000, v1
; %bb.6056:                             ;   in Loop: Header=BB0_7 Depth=1
	s_or_b32 exec_lo, exec_lo, s85
.LBB0_6057:                             ;   in Loop: Header=BB0_7 Depth=1
	s_and_not1_saveexec_b32 s84, s84
; %bb.6058:                             ;   in Loop: Header=BB0_7 Depth=1
	s_delay_alu instid0(VALU_DEP_1)
	v_add_nc_u32_e32 v1, 0x700000, v1
; %bb.6059:                             ;   in Loop: Header=BB0_7 Depth=1
	s_or_b32 exec_lo, exec_lo, s84
.LBB0_6060:                             ;   in Loop: Header=BB0_7 Depth=1
	s_and_not1_saveexec_b32 s83, s83
; %bb.6061:                             ;   in Loop: Header=BB0_7 Depth=1
	s_delay_alu instid0(VALU_DEP_1)
	v_add_nc_u32_e32 v1, 0x740000, v1
; %bb.6062:                             ;   in Loop: Header=BB0_7 Depth=1
	s_or_b32 exec_lo, exec_lo, s83
.LBB0_6063:                             ;   in Loop: Header=BB0_7 Depth=1
	s_and_not1_saveexec_b32 s82, s82
; %bb.6064:                             ;   in Loop: Header=BB0_7 Depth=1
	s_delay_alu instid0(VALU_DEP_1)
	v_add_nc_u32_e32 v1, 0x780000, v1
; %bb.6065:                             ;   in Loop: Header=BB0_7 Depth=1
	s_or_b32 exec_lo, exec_lo, s82
.LBB0_6066:                             ;   in Loop: Header=BB0_7 Depth=1
	s_and_not1_saveexec_b32 s81, s81
; %bb.6067:                             ;   in Loop: Header=BB0_7 Depth=1
	s_delay_alu instid0(VALU_DEP_1)
	v_add_nc_u32_e32 v1, 0x7c0000, v1
; %bb.6068:                             ;   in Loop: Header=BB0_7 Depth=1
	s_or_b32 exec_lo, exec_lo, s81
.LBB0_6069:                             ;   in Loop: Header=BB0_7 Depth=1
	s_delay_alu instid0(SALU_CYCLE_1) | instskip(SKIP_1) | instid1(SALU_CYCLE_1)
	s_or_b32 exec_lo, exec_lo, s80
	s_or_b32 s80, s33, 55
	v_cmp_ge_u32_e32 vcc_lo, s80, v0
	s_and_saveexec_b32 s80, vcc_lo
	s_delay_alu instid0(SALU_CYCLE_1)
	s_xor_b32 s80, exec_lo, s80
; %bb.6070:                             ;   in Loop: Header=BB0_7 Depth=1
	v_add_nc_u32_e32 v1, 0x7c000000, v1
; %bb.6071:                             ;   in Loop: Header=BB0_7 Depth=1
	s_and_not1_saveexec_b32 s80, s80
	s_cbranch_execz .LBB0_6195
; %bb.6072:                             ;   in Loop: Header=BB0_7 Depth=1
	s_add_co_i32 s81, s62, 0
	s_delay_alu instid0(SALU_CYCLE_1)
	v_mov_b32_e32 v8, s81
	s_mov_b32 s81, exec_lo
	ds_load_2addr_b64 v[12:15], v8 offset0:165 offset1:166
	ds_load_b64 v[16:17], v8 offset:1336
	s_wait_dscnt 0x1
	v_mul_f64_e32 v[8:9], v[4:5], v[14:15]
	s_delay_alu instid0(VALU_DEP_1) | instskip(SKIP_1) | instid1(VALU_DEP_1)
	v_fmac_f64_e32 v[8:9], v[2:3], v[12:13]
	s_wait_dscnt 0x0
	v_fmac_f64_e32 v[8:9], v[6:7], v[16:17]
	s_delay_alu instid0(VALU_DEP_1)
	v_cmpx_ngt_f64_e32 s[60:61], v[8:9]
	s_xor_b32 s81, exec_lo, s81
	s_cbranch_execz .LBB0_6192
; %bb.6073:                             ;   in Loop: Header=BB0_7 Depth=1
	s_mov_b32 s82, exec_lo
	v_cmpx_ngt_f64_e32 s[66:67], v[8:9]
	s_xor_b32 s82, exec_lo, s82
	s_cbranch_execz .LBB0_6189
; %bb.6074:                             ;   in Loop: Header=BB0_7 Depth=1
	s_mov_b32 s83, exec_lo
	;; [unrolled: 5-line block ×21, first 2 shown]
	v_cmpx_ngt_f64_e32 s[18:19], v[8:9]
	s_xor_b32 s104, exec_lo, s104
	s_cbranch_execz .LBB0_6129
; %bb.6094:                             ;   in Loop: Header=BB0_7 Depth=1
	s_mov_b32 vcc_hi, exec_lo
	v_cmpx_ngt_f64_e32 s[16:17], v[8:9]
	s_xor_b32 vcc_hi, exec_lo, vcc_hi
	s_delay_alu instid0(SALU_CYCLE_1)
	v_writelane_b32 v18, vcc_hi, 0
	s_cbranch_execz .LBB0_6126
; %bb.6095:                             ;   in Loop: Header=BB0_7 Depth=1
	s_mov_b32 vcc_hi, exec_lo
	v_cmpx_ngt_f64_e32 s[50:51], v[8:9]
	s_xor_b32 vcc_hi, exec_lo, vcc_hi
	s_delay_alu instid0(SALU_CYCLE_1)
	v_writelane_b32 v18, vcc_hi, 1
	;; [unrolled: 7-line block ×8, first 2 shown]
	s_cbranch_execz .LBB0_6105
; %bb.6102:                             ;   in Loop: Header=BB0_7 Depth=1
	s_mov_b32 vcc_lo, exec_lo
	v_cmpx_gt_f64_e32 s[36:37], v[8:9]
; %bb.6103:                             ;   in Loop: Header=BB0_7 Depth=1
	v_add_nc_u32_e32 v1, 0x4000000, v1
; %bb.6104:                             ;   in Loop: Header=BB0_7 Depth=1
	s_or_b32 exec_lo, exec_lo, vcc_lo
.LBB0_6105:                             ;   in Loop: Header=BB0_7 Depth=1
	s_delay_alu instid0(VALU_DEP_1)
	v_readlane_b32 vcc_lo, v18, 8
	s_and_not1_saveexec_b32 vcc_lo, vcc_lo
; %bb.6106:                             ;   in Loop: Header=BB0_7 Depth=1
	v_add_nc_u32_e32 v1, 0x8000000, v1
; %bb.6107:                             ;   in Loop: Header=BB0_7 Depth=1
	s_or_b32 exec_lo, exec_lo, vcc_lo
.LBB0_6108:                             ;   in Loop: Header=BB0_7 Depth=1
	s_delay_alu instid0(VALU_DEP_1)
	v_readlane_b32 vcc_lo, v18, 6
	s_and_not1_saveexec_b32 vcc_lo, vcc_lo
; %bb.6109:                             ;   in Loop: Header=BB0_7 Depth=1
	v_add_nc_u32_e32 v1, 0xc000000, v1
; %bb.6110:                             ;   in Loop: Header=BB0_7 Depth=1
	s_or_b32 exec_lo, exec_lo, vcc_lo
.LBB0_6111:                             ;   in Loop: Header=BB0_7 Depth=1
	s_delay_alu instid0(VALU_DEP_1)
	v_readlane_b32 vcc_lo, v18, 5
	s_and_not1_saveexec_b32 vcc_lo, vcc_lo
; %bb.6112:                             ;   in Loop: Header=BB0_7 Depth=1
	v_add_nc_u32_e32 v1, 0x10000000, v1
; %bb.6113:                             ;   in Loop: Header=BB0_7 Depth=1
	s_or_b32 exec_lo, exec_lo, vcc_lo
.LBB0_6114:                             ;   in Loop: Header=BB0_7 Depth=1
	s_delay_alu instid0(VALU_DEP_1)
	v_readlane_b32 vcc_lo, v18, 4
	s_and_not1_saveexec_b32 vcc_lo, vcc_lo
; %bb.6115:                             ;   in Loop: Header=BB0_7 Depth=1
	v_add_nc_u32_e32 v1, 0x14000000, v1
; %bb.6116:                             ;   in Loop: Header=BB0_7 Depth=1
	s_or_b32 exec_lo, exec_lo, vcc_lo
.LBB0_6117:                             ;   in Loop: Header=BB0_7 Depth=1
	s_delay_alu instid0(VALU_DEP_1)
	v_readlane_b32 vcc_lo, v18, 3
	s_and_not1_saveexec_b32 vcc_lo, vcc_lo
; %bb.6118:                             ;   in Loop: Header=BB0_7 Depth=1
	v_add_nc_u32_e32 v1, 0x18000000, v1
; %bb.6119:                             ;   in Loop: Header=BB0_7 Depth=1
	s_or_b32 exec_lo, exec_lo, vcc_lo
.LBB0_6120:                             ;   in Loop: Header=BB0_7 Depth=1
	s_delay_alu instid0(VALU_DEP_1)
	v_readlane_b32 vcc_lo, v18, 2
	s_and_not1_saveexec_b32 vcc_lo, vcc_lo
; %bb.6121:                             ;   in Loop: Header=BB0_7 Depth=1
	v_add_nc_u32_e32 v1, 0x1c000000, v1
; %bb.6122:                             ;   in Loop: Header=BB0_7 Depth=1
	s_or_b32 exec_lo, exec_lo, vcc_lo
.LBB0_6123:                             ;   in Loop: Header=BB0_7 Depth=1
	s_delay_alu instid0(VALU_DEP_1)
	v_readlane_b32 vcc_lo, v18, 1
	s_and_not1_saveexec_b32 vcc_lo, vcc_lo
; %bb.6124:                             ;   in Loop: Header=BB0_7 Depth=1
	v_add_nc_u32_e32 v1, 0x20000000, v1
; %bb.6125:                             ;   in Loop: Header=BB0_7 Depth=1
	s_or_b32 exec_lo, exec_lo, vcc_lo
.LBB0_6126:                             ;   in Loop: Header=BB0_7 Depth=1
	s_delay_alu instid0(VALU_DEP_1)
	v_readlane_b32 vcc_lo, v18, 0
	s_and_not1_saveexec_b32 vcc_lo, vcc_lo
; %bb.6127:                             ;   in Loop: Header=BB0_7 Depth=1
	v_add_nc_u32_e32 v1, 0x24000000, v1
; %bb.6128:                             ;   in Loop: Header=BB0_7 Depth=1
	s_or_b32 exec_lo, exec_lo, vcc_lo
.LBB0_6129:                             ;   in Loop: Header=BB0_7 Depth=1
	s_and_not1_saveexec_b32 s104, s104
; %bb.6130:                             ;   in Loop: Header=BB0_7 Depth=1
	s_delay_alu instid0(VALU_DEP_1)
	v_add_nc_u32_e32 v1, 0x28000000, v1
; %bb.6131:                             ;   in Loop: Header=BB0_7 Depth=1
	s_or_b32 exec_lo, exec_lo, s104
.LBB0_6132:                             ;   in Loop: Header=BB0_7 Depth=1
	s_and_not1_saveexec_b32 s101, s101
; %bb.6133:                             ;   in Loop: Header=BB0_7 Depth=1
	s_delay_alu instid0(VALU_DEP_1)
	v_add_nc_u32_e32 v1, 0x2c000000, v1
; %bb.6134:                             ;   in Loop: Header=BB0_7 Depth=1
	s_or_b32 exec_lo, exec_lo, s101
.LBB0_6135:                             ;   in Loop: Header=BB0_7 Depth=1
	s_and_not1_saveexec_b32 s100, s100
; %bb.6136:                             ;   in Loop: Header=BB0_7 Depth=1
	s_delay_alu instid0(VALU_DEP_1)
	v_add_nc_u32_e32 v1, 0x30000000, v1
; %bb.6137:                             ;   in Loop: Header=BB0_7 Depth=1
	s_or_b32 exec_lo, exec_lo, s100
.LBB0_6138:                             ;   in Loop: Header=BB0_7 Depth=1
	s_and_not1_saveexec_b32 s99, s99
; %bb.6139:                             ;   in Loop: Header=BB0_7 Depth=1
	s_delay_alu instid0(VALU_DEP_1)
	v_add_nc_u32_e32 v1, 0x34000000, v1
; %bb.6140:                             ;   in Loop: Header=BB0_7 Depth=1
	s_or_b32 exec_lo, exec_lo, s99
.LBB0_6141:                             ;   in Loop: Header=BB0_7 Depth=1
	s_and_not1_saveexec_b32 s98, s98
; %bb.6142:                             ;   in Loop: Header=BB0_7 Depth=1
	s_delay_alu instid0(VALU_DEP_1)
	v_add_nc_u32_e32 v1, 0x38000000, v1
; %bb.6143:                             ;   in Loop: Header=BB0_7 Depth=1
	s_or_b32 exec_lo, exec_lo, s98
.LBB0_6144:                             ;   in Loop: Header=BB0_7 Depth=1
	s_and_not1_saveexec_b32 s97, s97
; %bb.6145:                             ;   in Loop: Header=BB0_7 Depth=1
	s_delay_alu instid0(VALU_DEP_1)
	v_add_nc_u32_e32 v1, 0x3c000000, v1
; %bb.6146:                             ;   in Loop: Header=BB0_7 Depth=1
	s_or_b32 exec_lo, exec_lo, s97
.LBB0_6147:                             ;   in Loop: Header=BB0_7 Depth=1
	s_and_not1_saveexec_b32 s96, s96
; %bb.6148:                             ;   in Loop: Header=BB0_7 Depth=1
	s_delay_alu instid0(VALU_DEP_1)
	v_add_nc_u32_e32 v1, 2.0, v1
; %bb.6149:                             ;   in Loop: Header=BB0_7 Depth=1
	s_or_b32 exec_lo, exec_lo, s96
.LBB0_6150:                             ;   in Loop: Header=BB0_7 Depth=1
	s_and_not1_saveexec_b32 s95, s95
; %bb.6151:                             ;   in Loop: Header=BB0_7 Depth=1
	s_delay_alu instid0(VALU_DEP_1)
	v_add_nc_u32_e32 v1, 0x44000000, v1
; %bb.6152:                             ;   in Loop: Header=BB0_7 Depth=1
	s_or_b32 exec_lo, exec_lo, s95
.LBB0_6153:                             ;   in Loop: Header=BB0_7 Depth=1
	s_and_not1_saveexec_b32 s94, s94
; %bb.6154:                             ;   in Loop: Header=BB0_7 Depth=1
	s_delay_alu instid0(VALU_DEP_1)
	v_add_nc_u32_e32 v1, 0x48000000, v1
; %bb.6155:                             ;   in Loop: Header=BB0_7 Depth=1
	s_or_b32 exec_lo, exec_lo, s94
.LBB0_6156:                             ;   in Loop: Header=BB0_7 Depth=1
	s_and_not1_saveexec_b32 s93, s93
; %bb.6157:                             ;   in Loop: Header=BB0_7 Depth=1
	s_delay_alu instid0(VALU_DEP_1)
	v_add_nc_u32_e32 v1, 0x4c000000, v1
; %bb.6158:                             ;   in Loop: Header=BB0_7 Depth=1
	s_or_b32 exec_lo, exec_lo, s93
.LBB0_6159:                             ;   in Loop: Header=BB0_7 Depth=1
	s_and_not1_saveexec_b32 s92, s92
; %bb.6160:                             ;   in Loop: Header=BB0_7 Depth=1
	s_delay_alu instid0(VALU_DEP_1)
	v_add_nc_u32_e32 v1, 0x50000000, v1
; %bb.6161:                             ;   in Loop: Header=BB0_7 Depth=1
	s_or_b32 exec_lo, exec_lo, s92
.LBB0_6162:                             ;   in Loop: Header=BB0_7 Depth=1
	s_and_not1_saveexec_b32 s91, s91
; %bb.6163:                             ;   in Loop: Header=BB0_7 Depth=1
	s_delay_alu instid0(VALU_DEP_1)
	v_add_nc_u32_e32 v1, 0x54000000, v1
; %bb.6164:                             ;   in Loop: Header=BB0_7 Depth=1
	s_or_b32 exec_lo, exec_lo, s91
.LBB0_6165:                             ;   in Loop: Header=BB0_7 Depth=1
	s_and_not1_saveexec_b32 s90, s90
; %bb.6166:                             ;   in Loop: Header=BB0_7 Depth=1
	s_delay_alu instid0(VALU_DEP_1)
	v_add_nc_u32_e32 v1, 0x58000000, v1
; %bb.6167:                             ;   in Loop: Header=BB0_7 Depth=1
	s_or_b32 exec_lo, exec_lo, s90
.LBB0_6168:                             ;   in Loop: Header=BB0_7 Depth=1
	s_and_not1_saveexec_b32 s89, s89
; %bb.6169:                             ;   in Loop: Header=BB0_7 Depth=1
	s_delay_alu instid0(VALU_DEP_1)
	v_add_nc_u32_e32 v1, 0x5c000000, v1
; %bb.6170:                             ;   in Loop: Header=BB0_7 Depth=1
	s_or_b32 exec_lo, exec_lo, s89
.LBB0_6171:                             ;   in Loop: Header=BB0_7 Depth=1
	s_and_not1_saveexec_b32 s88, s88
; %bb.6172:                             ;   in Loop: Header=BB0_7 Depth=1
	s_delay_alu instid0(VALU_DEP_1)
	v_add_nc_u32_e32 v1, 0x60000000, v1
; %bb.6173:                             ;   in Loop: Header=BB0_7 Depth=1
	s_or_b32 exec_lo, exec_lo, s88
.LBB0_6174:                             ;   in Loop: Header=BB0_7 Depth=1
	s_and_not1_saveexec_b32 s87, s87
; %bb.6175:                             ;   in Loop: Header=BB0_7 Depth=1
	s_delay_alu instid0(VALU_DEP_1)
	v_add_nc_u32_e32 v1, 0x64000000, v1
; %bb.6176:                             ;   in Loop: Header=BB0_7 Depth=1
	s_or_b32 exec_lo, exec_lo, s87
.LBB0_6177:                             ;   in Loop: Header=BB0_7 Depth=1
	s_and_not1_saveexec_b32 s86, s86
; %bb.6178:                             ;   in Loop: Header=BB0_7 Depth=1
	s_delay_alu instid0(VALU_DEP_1)
	v_add_nc_u32_e32 v1, 0x68000000, v1
; %bb.6179:                             ;   in Loop: Header=BB0_7 Depth=1
	s_or_b32 exec_lo, exec_lo, s86
.LBB0_6180:                             ;   in Loop: Header=BB0_7 Depth=1
	s_and_not1_saveexec_b32 s85, s85
; %bb.6181:                             ;   in Loop: Header=BB0_7 Depth=1
	s_delay_alu instid0(VALU_DEP_1)
	v_add_nc_u32_e32 v1, 0x6c000000, v1
; %bb.6182:                             ;   in Loop: Header=BB0_7 Depth=1
	s_or_b32 exec_lo, exec_lo, s85
.LBB0_6183:                             ;   in Loop: Header=BB0_7 Depth=1
	s_and_not1_saveexec_b32 s84, s84
; %bb.6184:                             ;   in Loop: Header=BB0_7 Depth=1
	s_delay_alu instid0(VALU_DEP_1)
	v_add_nc_u32_e32 v1, 0x70000000, v1
; %bb.6185:                             ;   in Loop: Header=BB0_7 Depth=1
	s_or_b32 exec_lo, exec_lo, s84
.LBB0_6186:                             ;   in Loop: Header=BB0_7 Depth=1
	s_and_not1_saveexec_b32 s83, s83
; %bb.6187:                             ;   in Loop: Header=BB0_7 Depth=1
	s_delay_alu instid0(VALU_DEP_1)
	v_add_nc_u32_e32 v1, 0x74000000, v1
; %bb.6188:                             ;   in Loop: Header=BB0_7 Depth=1
	s_or_b32 exec_lo, exec_lo, s83
.LBB0_6189:                             ;   in Loop: Header=BB0_7 Depth=1
	s_and_not1_saveexec_b32 s82, s82
; %bb.6190:                             ;   in Loop: Header=BB0_7 Depth=1
	s_delay_alu instid0(VALU_DEP_1)
	v_add_nc_u32_e32 v1, 0x78000000, v1
; %bb.6191:                             ;   in Loop: Header=BB0_7 Depth=1
	s_or_b32 exec_lo, exec_lo, s82
.LBB0_6192:                             ;   in Loop: Header=BB0_7 Depth=1
	s_and_not1_saveexec_b32 s81, s81
; %bb.6193:                             ;   in Loop: Header=BB0_7 Depth=1
	s_delay_alu instid0(VALU_DEP_1)
	v_add_nc_u32_e32 v1, 0x7c000000, v1
; %bb.6194:                             ;   in Loop: Header=BB0_7 Depth=1
	s_or_b32 exec_lo, exec_lo, s81
.LBB0_6195:                             ;   in Loop: Header=BB0_7 Depth=1
	s_delay_alu instid0(SALU_CYCLE_1)
	s_or_b32 exec_lo, exec_lo, s80
	v_lshl_add_u32 v8, s63, 12, v10
	v_mov_b32_e32 v11, 0x7c
	s_or_b32 s80, s33, 56
	s_mov_b32 s63, exec_lo
	global_store_b32 v8, v1, s[34:35] scale_offset
	s_wait_xcnt 0x0
	v_cmpx_lt_u32_e64 s80, v0
	s_cbranch_execz .LBB0_6259
; %bb.6196:                             ;   in Loop: Header=BB0_7 Depth=1
	s_add_co_i32 s81, s62, 0
	v_mov_b32_e32 v11, 0x7c
	v_mov_b32_e32 v1, s81
	s_mov_b32 s81, exec_lo
	ds_load_2addr_b64 v[12:15], v1 offset0:168 offset1:169
	ds_load_b64 v[16:17], v1 offset:1360
	s_wait_dscnt 0x1
	v_mul_f64_e32 v[8:9], v[4:5], v[14:15]
	s_delay_alu instid0(VALU_DEP_1) | instskip(SKIP_1) | instid1(VALU_DEP_1)
	v_fmac_f64_e32 v[8:9], v[2:3], v[12:13]
	s_wait_dscnt 0x0
	v_fmac_f64_e32 v[8:9], v[6:7], v[16:17]
	s_delay_alu instid0(VALU_DEP_1)
	v_cmpx_ngt_f64_e32 s[60:61], v[8:9]
	s_cbranch_execz .LBB0_6258
; %bb.6197:                             ;   in Loop: Header=BB0_7 Depth=1
	v_mov_b32_e32 v11, 0x78
	s_mov_b32 s82, exec_lo
	v_cmpx_ngt_f64_e32 s[66:67], v[8:9]
	s_cbranch_execz .LBB0_6257
; %bb.6198:                             ;   in Loop: Header=BB0_7 Depth=1
	v_mov_b32_e32 v11, 0x74
	s_mov_b32 s83, exec_lo
	;; [unrolled: 5-line block ×21, first 2 shown]
	v_cmpx_ngt_f64_e32 s[18:19], v[8:9]
	s_cbranch_execz .LBB0_6237
; %bb.6218:                             ;   in Loop: Header=BB0_7 Depth=1
	v_mov_b32_e32 v11, 36
	v_cmp_ngt_f64_e32 vcc_lo, s[16:17], v[8:9]
	s_mov_b32 vcc_hi, exec_lo
	s_delay_alu instid0(SALU_CYCLE_1)
	s_and_b32 vcc_lo, vcc_hi, vcc_lo
	v_writelane_b32 v18, vcc_hi, 0
	s_mov_b32 exec_lo, vcc_lo
	s_cbranch_execz .LBB0_6236
; %bb.6219:                             ;   in Loop: Header=BB0_7 Depth=1
	v_mov_b32_e32 v11, 32
	v_cmp_ngt_f64_e32 vcc_lo, s[50:51], v[8:9]
	s_mov_b32 vcc_hi, exec_lo
	s_delay_alu instid0(SALU_CYCLE_1)
	s_and_b32 vcc_lo, vcc_hi, vcc_lo
	v_writelane_b32 v18, vcc_hi, 1
	s_mov_b32 exec_lo, vcc_lo
	;; [unrolled: 9-line block ×8, first 2 shown]
	s_cbranch_execz .LBB0_6229
; %bb.6226:                             ;   in Loop: Header=BB0_7 Depth=1
	v_mov_b32_e32 v11, 0
	s_mov_b32 vcc_hi, exec_lo
	v_cmpx_gt_f64_e32 s[36:37], v[8:9]
; %bb.6227:                             ;   in Loop: Header=BB0_7 Depth=1
	v_mov_b32_e32 v11, 4
; %bb.6228:                             ;   in Loop: Header=BB0_7 Depth=1
	s_or_b32 exec_lo, exec_lo, vcc_hi
.LBB0_6229:                             ;   in Loop: Header=BB0_7 Depth=1
	s_delay_alu instid0(VALU_DEP_1)
	v_readlane_b32 vcc_lo, v18, 8
	s_or_b32 exec_lo, exec_lo, vcc_lo
.LBB0_6230:                             ;   in Loop: Header=BB0_7 Depth=1
	s_delay_alu instid0(VALU_DEP_1)
	v_readlane_b32 vcc_lo, v18, 6
	s_or_b32 exec_lo, exec_lo, vcc_lo
.LBB0_6231:                             ;   in Loop: Header=BB0_7 Depth=1
	s_delay_alu instid0(VALU_DEP_1)
	v_readlane_b32 vcc_lo, v18, 5
	s_or_b32 exec_lo, exec_lo, vcc_lo
.LBB0_6232:                             ;   in Loop: Header=BB0_7 Depth=1
	s_delay_alu instid0(VALU_DEP_1)
	v_readlane_b32 vcc_lo, v18, 4
	s_or_b32 exec_lo, exec_lo, vcc_lo
.LBB0_6233:                             ;   in Loop: Header=BB0_7 Depth=1
	s_delay_alu instid0(VALU_DEP_1)
	v_readlane_b32 vcc_lo, v18, 3
	s_or_b32 exec_lo, exec_lo, vcc_lo
.LBB0_6234:                             ;   in Loop: Header=BB0_7 Depth=1
	s_delay_alu instid0(VALU_DEP_1)
	v_readlane_b32 vcc_lo, v18, 2
	s_or_b32 exec_lo, exec_lo, vcc_lo
.LBB0_6235:                             ;   in Loop: Header=BB0_7 Depth=1
	s_delay_alu instid0(VALU_DEP_1)
	v_readlane_b32 vcc_lo, v18, 1
	s_or_b32 exec_lo, exec_lo, vcc_lo
.LBB0_6236:                             ;   in Loop: Header=BB0_7 Depth=1
	s_delay_alu instid0(VALU_DEP_1)
	v_readlane_b32 vcc_lo, v18, 0
	s_or_b32 exec_lo, exec_lo, vcc_lo
.LBB0_6237:                             ;   in Loop: Header=BB0_7 Depth=1
	s_delay_alu instid0(SALU_CYCLE_1)
	s_or_b32 exec_lo, exec_lo, s104
.LBB0_6238:                             ;   in Loop: Header=BB0_7 Depth=1
	s_delay_alu instid0(SALU_CYCLE_1)
	s_or_b32 exec_lo, exec_lo, s101
.LBB0_6239:                             ;   in Loop: Header=BB0_7 Depth=1
	s_delay_alu instid0(SALU_CYCLE_1)
	s_or_b32 exec_lo, exec_lo, s100
.LBB0_6240:                             ;   in Loop: Header=BB0_7 Depth=1
	s_delay_alu instid0(SALU_CYCLE_1)
	s_or_b32 exec_lo, exec_lo, s99
.LBB0_6241:                             ;   in Loop: Header=BB0_7 Depth=1
	s_delay_alu instid0(SALU_CYCLE_1)
	s_or_b32 exec_lo, exec_lo, s98
.LBB0_6242:                             ;   in Loop: Header=BB0_7 Depth=1
	s_delay_alu instid0(SALU_CYCLE_1)
	s_or_b32 exec_lo, exec_lo, s97
.LBB0_6243:                             ;   in Loop: Header=BB0_7 Depth=1
	s_delay_alu instid0(SALU_CYCLE_1)
	s_or_b32 exec_lo, exec_lo, s96
.LBB0_6244:                             ;   in Loop: Header=BB0_7 Depth=1
	s_delay_alu instid0(SALU_CYCLE_1)
	s_or_b32 exec_lo, exec_lo, s95
.LBB0_6245:                             ;   in Loop: Header=BB0_7 Depth=1
	s_delay_alu instid0(SALU_CYCLE_1)
	s_or_b32 exec_lo, exec_lo, s94
.LBB0_6246:                             ;   in Loop: Header=BB0_7 Depth=1
	s_delay_alu instid0(SALU_CYCLE_1)
	s_or_b32 exec_lo, exec_lo, s93
.LBB0_6247:                             ;   in Loop: Header=BB0_7 Depth=1
	s_delay_alu instid0(SALU_CYCLE_1)
	s_or_b32 exec_lo, exec_lo, s92
.LBB0_6248:                             ;   in Loop: Header=BB0_7 Depth=1
	s_delay_alu instid0(SALU_CYCLE_1)
	s_or_b32 exec_lo, exec_lo, s91
.LBB0_6249:                             ;   in Loop: Header=BB0_7 Depth=1
	s_delay_alu instid0(SALU_CYCLE_1)
	s_or_b32 exec_lo, exec_lo, s90
.LBB0_6250:                             ;   in Loop: Header=BB0_7 Depth=1
	s_delay_alu instid0(SALU_CYCLE_1)
	s_or_b32 exec_lo, exec_lo, s89
.LBB0_6251:                             ;   in Loop: Header=BB0_7 Depth=1
	s_delay_alu instid0(SALU_CYCLE_1)
	s_or_b32 exec_lo, exec_lo, s88
.LBB0_6252:                             ;   in Loop: Header=BB0_7 Depth=1
	s_delay_alu instid0(SALU_CYCLE_1)
	s_or_b32 exec_lo, exec_lo, s87
.LBB0_6253:                             ;   in Loop: Header=BB0_7 Depth=1
	s_delay_alu instid0(SALU_CYCLE_1)
	s_or_b32 exec_lo, exec_lo, s86
.LBB0_6254:                             ;   in Loop: Header=BB0_7 Depth=1
	s_delay_alu instid0(SALU_CYCLE_1)
	s_or_b32 exec_lo, exec_lo, s85
.LBB0_6255:                             ;   in Loop: Header=BB0_7 Depth=1
	s_delay_alu instid0(SALU_CYCLE_1)
	s_or_b32 exec_lo, exec_lo, s84
.LBB0_6256:                             ;   in Loop: Header=BB0_7 Depth=1
	s_delay_alu instid0(SALU_CYCLE_1)
	s_or_b32 exec_lo, exec_lo, s83
.LBB0_6257:                             ;   in Loop: Header=BB0_7 Depth=1
	s_delay_alu instid0(SALU_CYCLE_1)
	s_or_b32 exec_lo, exec_lo, s82
.LBB0_6258:                             ;   in Loop: Header=BB0_7 Depth=1
	s_delay_alu instid0(SALU_CYCLE_1)
	s_or_b32 exec_lo, exec_lo, s81
.LBB0_6259:                             ;   in Loop: Header=BB0_7 Depth=1
	s_delay_alu instid0(SALU_CYCLE_1) | instskip(SKIP_1) | instid1(SALU_CYCLE_1)
	s_or_b32 exec_lo, exec_lo, s63
	s_or_b32 s63, s33, 57
	v_cmp_ge_u32_e32 vcc_lo, s63, v0
	s_and_saveexec_b32 s63, vcc_lo
	s_delay_alu instid0(SALU_CYCLE_1)
	s_xor_b32 s63, exec_lo, s63
; %bb.6260:                             ;   in Loop: Header=BB0_7 Depth=1
	v_or_b32_e32 v11, 0x7c00, v11
; %bb.6261:                             ;   in Loop: Header=BB0_7 Depth=1
	s_and_not1_saveexec_b32 s63, s63
	s_cbranch_execz .LBB0_6385
; %bb.6262:                             ;   in Loop: Header=BB0_7 Depth=1
	s_add_co_i32 s81, s62, 0
	s_delay_alu instid0(SALU_CYCLE_1)
	v_mov_b32_e32 v1, s81
	s_mov_b32 s81, exec_lo
	ds_load_2addr_b64 v[12:15], v1 offset0:171 offset1:172
	ds_load_b64 v[16:17], v1 offset:1384
	s_wait_dscnt 0x1
	v_mul_f64_e32 v[8:9], v[4:5], v[14:15]
	s_delay_alu instid0(VALU_DEP_1) | instskip(SKIP_1) | instid1(VALU_DEP_1)
	v_fmac_f64_e32 v[8:9], v[2:3], v[12:13]
	s_wait_dscnt 0x0
	v_fmac_f64_e32 v[8:9], v[6:7], v[16:17]
	s_delay_alu instid0(VALU_DEP_1)
	v_cmpx_ngt_f64_e32 s[60:61], v[8:9]
	s_xor_b32 s81, exec_lo, s81
	s_cbranch_execz .LBB0_6382
; %bb.6263:                             ;   in Loop: Header=BB0_7 Depth=1
	s_mov_b32 s82, exec_lo
	v_cmpx_ngt_f64_e32 s[66:67], v[8:9]
	s_xor_b32 s82, exec_lo, s82
	s_cbranch_execz .LBB0_6379
; %bb.6264:                             ;   in Loop: Header=BB0_7 Depth=1
	s_mov_b32 s83, exec_lo
	;; [unrolled: 5-line block ×21, first 2 shown]
	v_cmpx_ngt_f64_e32 s[18:19], v[8:9]
	s_xor_b32 s104, exec_lo, s104
	s_cbranch_execz .LBB0_6319
; %bb.6284:                             ;   in Loop: Header=BB0_7 Depth=1
	s_mov_b32 vcc_hi, exec_lo
	v_cmpx_ngt_f64_e32 s[16:17], v[8:9]
	s_xor_b32 vcc_hi, exec_lo, vcc_hi
	s_delay_alu instid0(SALU_CYCLE_1)
	v_writelane_b32 v18, vcc_hi, 0
	s_cbranch_execz .LBB0_6316
; %bb.6285:                             ;   in Loop: Header=BB0_7 Depth=1
	s_mov_b32 vcc_hi, exec_lo
	v_cmpx_ngt_f64_e32 s[50:51], v[8:9]
	s_xor_b32 vcc_hi, exec_lo, vcc_hi
	s_delay_alu instid0(SALU_CYCLE_1)
	v_writelane_b32 v18, vcc_hi, 1
	;; [unrolled: 7-line block ×8, first 2 shown]
	s_cbranch_execz .LBB0_6295
; %bb.6292:                             ;   in Loop: Header=BB0_7 Depth=1
	s_mov_b32 vcc_lo, exec_lo
	v_cmpx_gt_f64_e32 s[36:37], v[8:9]
; %bb.6293:                             ;   in Loop: Header=BB0_7 Depth=1
	v_or_b32_e32 v11, 0x400, v11
; %bb.6294:                             ;   in Loop: Header=BB0_7 Depth=1
	s_or_b32 exec_lo, exec_lo, vcc_lo
.LBB0_6295:                             ;   in Loop: Header=BB0_7 Depth=1
	s_delay_alu instid0(VALU_DEP_1)
	v_readlane_b32 vcc_lo, v18, 8
	s_and_not1_saveexec_b32 vcc_lo, vcc_lo
; %bb.6296:                             ;   in Loop: Header=BB0_7 Depth=1
	v_or_b32_e32 v11, 0x800, v11
; %bb.6297:                             ;   in Loop: Header=BB0_7 Depth=1
	s_or_b32 exec_lo, exec_lo, vcc_lo
.LBB0_6298:                             ;   in Loop: Header=BB0_7 Depth=1
	s_delay_alu instid0(VALU_DEP_1)
	v_readlane_b32 vcc_lo, v18, 6
	s_and_not1_saveexec_b32 vcc_lo, vcc_lo
; %bb.6299:                             ;   in Loop: Header=BB0_7 Depth=1
	v_or_b32_e32 v11, 0xc00, v11
; %bb.6300:                             ;   in Loop: Header=BB0_7 Depth=1
	s_or_b32 exec_lo, exec_lo, vcc_lo
.LBB0_6301:                             ;   in Loop: Header=BB0_7 Depth=1
	s_delay_alu instid0(VALU_DEP_1)
	v_readlane_b32 vcc_lo, v18, 5
	s_and_not1_saveexec_b32 vcc_lo, vcc_lo
; %bb.6302:                             ;   in Loop: Header=BB0_7 Depth=1
	v_or_b32_e32 v11, 0x1000, v11
; %bb.6303:                             ;   in Loop: Header=BB0_7 Depth=1
	s_or_b32 exec_lo, exec_lo, vcc_lo
.LBB0_6304:                             ;   in Loop: Header=BB0_7 Depth=1
	s_delay_alu instid0(VALU_DEP_1)
	v_readlane_b32 vcc_lo, v18, 4
	s_and_not1_saveexec_b32 vcc_lo, vcc_lo
; %bb.6305:                             ;   in Loop: Header=BB0_7 Depth=1
	v_or_b32_e32 v11, 0x1400, v11
; %bb.6306:                             ;   in Loop: Header=BB0_7 Depth=1
	s_or_b32 exec_lo, exec_lo, vcc_lo
.LBB0_6307:                             ;   in Loop: Header=BB0_7 Depth=1
	s_delay_alu instid0(VALU_DEP_1)
	v_readlane_b32 vcc_lo, v18, 3
	s_and_not1_saveexec_b32 vcc_lo, vcc_lo
; %bb.6308:                             ;   in Loop: Header=BB0_7 Depth=1
	v_or_b32_e32 v11, 0x1800, v11
; %bb.6309:                             ;   in Loop: Header=BB0_7 Depth=1
	s_or_b32 exec_lo, exec_lo, vcc_lo
.LBB0_6310:                             ;   in Loop: Header=BB0_7 Depth=1
	s_delay_alu instid0(VALU_DEP_1)
	v_readlane_b32 vcc_lo, v18, 2
	s_and_not1_saveexec_b32 vcc_lo, vcc_lo
; %bb.6311:                             ;   in Loop: Header=BB0_7 Depth=1
	v_or_b32_e32 v11, 0x1c00, v11
; %bb.6312:                             ;   in Loop: Header=BB0_7 Depth=1
	s_or_b32 exec_lo, exec_lo, vcc_lo
.LBB0_6313:                             ;   in Loop: Header=BB0_7 Depth=1
	s_delay_alu instid0(VALU_DEP_1)
	v_readlane_b32 vcc_lo, v18, 1
	s_and_not1_saveexec_b32 vcc_lo, vcc_lo
; %bb.6314:                             ;   in Loop: Header=BB0_7 Depth=1
	v_or_b32_e32 v11, 0x2000, v11
; %bb.6315:                             ;   in Loop: Header=BB0_7 Depth=1
	s_or_b32 exec_lo, exec_lo, vcc_lo
.LBB0_6316:                             ;   in Loop: Header=BB0_7 Depth=1
	s_delay_alu instid0(VALU_DEP_1)
	v_readlane_b32 vcc_lo, v18, 0
	s_and_not1_saveexec_b32 vcc_lo, vcc_lo
; %bb.6317:                             ;   in Loop: Header=BB0_7 Depth=1
	v_or_b32_e32 v11, 0x2400, v11
; %bb.6318:                             ;   in Loop: Header=BB0_7 Depth=1
	s_or_b32 exec_lo, exec_lo, vcc_lo
.LBB0_6319:                             ;   in Loop: Header=BB0_7 Depth=1
	s_and_not1_saveexec_b32 s104, s104
; %bb.6320:                             ;   in Loop: Header=BB0_7 Depth=1
	s_delay_alu instid0(VALU_DEP_1)
	v_or_b32_e32 v11, 0x2800, v11
; %bb.6321:                             ;   in Loop: Header=BB0_7 Depth=1
	s_or_b32 exec_lo, exec_lo, s104
.LBB0_6322:                             ;   in Loop: Header=BB0_7 Depth=1
	s_and_not1_saveexec_b32 s101, s101
; %bb.6323:                             ;   in Loop: Header=BB0_7 Depth=1
	s_delay_alu instid0(VALU_DEP_1)
	v_or_b32_e32 v11, 0x2c00, v11
; %bb.6324:                             ;   in Loop: Header=BB0_7 Depth=1
	s_or_b32 exec_lo, exec_lo, s101
.LBB0_6325:                             ;   in Loop: Header=BB0_7 Depth=1
	s_and_not1_saveexec_b32 s100, s100
; %bb.6326:                             ;   in Loop: Header=BB0_7 Depth=1
	s_delay_alu instid0(VALU_DEP_1)
	v_or_b32_e32 v11, 0x3000, v11
; %bb.6327:                             ;   in Loop: Header=BB0_7 Depth=1
	s_or_b32 exec_lo, exec_lo, s100
.LBB0_6328:                             ;   in Loop: Header=BB0_7 Depth=1
	s_and_not1_saveexec_b32 s99, s99
; %bb.6329:                             ;   in Loop: Header=BB0_7 Depth=1
	s_delay_alu instid0(VALU_DEP_1)
	v_or_b32_e32 v11, 0x3400, v11
; %bb.6330:                             ;   in Loop: Header=BB0_7 Depth=1
	s_or_b32 exec_lo, exec_lo, s99
.LBB0_6331:                             ;   in Loop: Header=BB0_7 Depth=1
	s_and_not1_saveexec_b32 s98, s98
; %bb.6332:                             ;   in Loop: Header=BB0_7 Depth=1
	s_delay_alu instid0(VALU_DEP_1)
	v_or_b32_e32 v11, 0x3800, v11
; %bb.6333:                             ;   in Loop: Header=BB0_7 Depth=1
	s_or_b32 exec_lo, exec_lo, s98
.LBB0_6334:                             ;   in Loop: Header=BB0_7 Depth=1
	s_and_not1_saveexec_b32 s97, s97
; %bb.6335:                             ;   in Loop: Header=BB0_7 Depth=1
	s_delay_alu instid0(VALU_DEP_1)
	v_or_b32_e32 v11, 0x3c00, v11
; %bb.6336:                             ;   in Loop: Header=BB0_7 Depth=1
	s_or_b32 exec_lo, exec_lo, s97
.LBB0_6337:                             ;   in Loop: Header=BB0_7 Depth=1
	s_and_not1_saveexec_b32 s96, s96
; %bb.6338:                             ;   in Loop: Header=BB0_7 Depth=1
	s_delay_alu instid0(VALU_DEP_1)
	v_or_b32_e32 v11, 0x4000, v11
; %bb.6339:                             ;   in Loop: Header=BB0_7 Depth=1
	s_or_b32 exec_lo, exec_lo, s96
.LBB0_6340:                             ;   in Loop: Header=BB0_7 Depth=1
	s_and_not1_saveexec_b32 s95, s95
; %bb.6341:                             ;   in Loop: Header=BB0_7 Depth=1
	s_delay_alu instid0(VALU_DEP_1)
	v_or_b32_e32 v11, 0x4400, v11
; %bb.6342:                             ;   in Loop: Header=BB0_7 Depth=1
	s_or_b32 exec_lo, exec_lo, s95
.LBB0_6343:                             ;   in Loop: Header=BB0_7 Depth=1
	s_and_not1_saveexec_b32 s94, s94
; %bb.6344:                             ;   in Loop: Header=BB0_7 Depth=1
	s_delay_alu instid0(VALU_DEP_1)
	v_or_b32_e32 v11, 0x4800, v11
; %bb.6345:                             ;   in Loop: Header=BB0_7 Depth=1
	s_or_b32 exec_lo, exec_lo, s94
.LBB0_6346:                             ;   in Loop: Header=BB0_7 Depth=1
	s_and_not1_saveexec_b32 s93, s93
; %bb.6347:                             ;   in Loop: Header=BB0_7 Depth=1
	s_delay_alu instid0(VALU_DEP_1)
	v_or_b32_e32 v11, 0x4c00, v11
; %bb.6348:                             ;   in Loop: Header=BB0_7 Depth=1
	s_or_b32 exec_lo, exec_lo, s93
.LBB0_6349:                             ;   in Loop: Header=BB0_7 Depth=1
	s_and_not1_saveexec_b32 s92, s92
; %bb.6350:                             ;   in Loop: Header=BB0_7 Depth=1
	s_delay_alu instid0(VALU_DEP_1)
	v_or_b32_e32 v11, 0x5000, v11
; %bb.6351:                             ;   in Loop: Header=BB0_7 Depth=1
	s_or_b32 exec_lo, exec_lo, s92
.LBB0_6352:                             ;   in Loop: Header=BB0_7 Depth=1
	s_and_not1_saveexec_b32 s91, s91
; %bb.6353:                             ;   in Loop: Header=BB0_7 Depth=1
	s_delay_alu instid0(VALU_DEP_1)
	v_or_b32_e32 v11, 0x5400, v11
; %bb.6354:                             ;   in Loop: Header=BB0_7 Depth=1
	s_or_b32 exec_lo, exec_lo, s91
.LBB0_6355:                             ;   in Loop: Header=BB0_7 Depth=1
	s_and_not1_saveexec_b32 s90, s90
; %bb.6356:                             ;   in Loop: Header=BB0_7 Depth=1
	s_delay_alu instid0(VALU_DEP_1)
	v_or_b32_e32 v11, 0x5800, v11
; %bb.6357:                             ;   in Loop: Header=BB0_7 Depth=1
	s_or_b32 exec_lo, exec_lo, s90
.LBB0_6358:                             ;   in Loop: Header=BB0_7 Depth=1
	s_and_not1_saveexec_b32 s89, s89
; %bb.6359:                             ;   in Loop: Header=BB0_7 Depth=1
	s_delay_alu instid0(VALU_DEP_1)
	v_or_b32_e32 v11, 0x5c00, v11
; %bb.6360:                             ;   in Loop: Header=BB0_7 Depth=1
	s_or_b32 exec_lo, exec_lo, s89
.LBB0_6361:                             ;   in Loop: Header=BB0_7 Depth=1
	s_and_not1_saveexec_b32 s88, s88
; %bb.6362:                             ;   in Loop: Header=BB0_7 Depth=1
	s_delay_alu instid0(VALU_DEP_1)
	v_or_b32_e32 v11, 0x6000, v11
; %bb.6363:                             ;   in Loop: Header=BB0_7 Depth=1
	s_or_b32 exec_lo, exec_lo, s88
.LBB0_6364:                             ;   in Loop: Header=BB0_7 Depth=1
	s_and_not1_saveexec_b32 s87, s87
; %bb.6365:                             ;   in Loop: Header=BB0_7 Depth=1
	s_delay_alu instid0(VALU_DEP_1)
	v_or_b32_e32 v11, 0x6400, v11
; %bb.6366:                             ;   in Loop: Header=BB0_7 Depth=1
	s_or_b32 exec_lo, exec_lo, s87
.LBB0_6367:                             ;   in Loop: Header=BB0_7 Depth=1
	s_and_not1_saveexec_b32 s86, s86
; %bb.6368:                             ;   in Loop: Header=BB0_7 Depth=1
	s_delay_alu instid0(VALU_DEP_1)
	v_or_b32_e32 v11, 0x6800, v11
; %bb.6369:                             ;   in Loop: Header=BB0_7 Depth=1
	s_or_b32 exec_lo, exec_lo, s86
.LBB0_6370:                             ;   in Loop: Header=BB0_7 Depth=1
	s_and_not1_saveexec_b32 s85, s85
; %bb.6371:                             ;   in Loop: Header=BB0_7 Depth=1
	s_delay_alu instid0(VALU_DEP_1)
	v_or_b32_e32 v11, 0x6c00, v11
; %bb.6372:                             ;   in Loop: Header=BB0_7 Depth=1
	s_or_b32 exec_lo, exec_lo, s85
.LBB0_6373:                             ;   in Loop: Header=BB0_7 Depth=1
	s_and_not1_saveexec_b32 s84, s84
; %bb.6374:                             ;   in Loop: Header=BB0_7 Depth=1
	s_delay_alu instid0(VALU_DEP_1)
	v_or_b32_e32 v11, 0x7000, v11
; %bb.6375:                             ;   in Loop: Header=BB0_7 Depth=1
	s_or_b32 exec_lo, exec_lo, s84
.LBB0_6376:                             ;   in Loop: Header=BB0_7 Depth=1
	s_and_not1_saveexec_b32 s83, s83
; %bb.6377:                             ;   in Loop: Header=BB0_7 Depth=1
	s_delay_alu instid0(VALU_DEP_1)
	v_or_b32_e32 v11, 0x7400, v11
; %bb.6378:                             ;   in Loop: Header=BB0_7 Depth=1
	s_or_b32 exec_lo, exec_lo, s83
.LBB0_6379:                             ;   in Loop: Header=BB0_7 Depth=1
	s_and_not1_saveexec_b32 s82, s82
; %bb.6380:                             ;   in Loop: Header=BB0_7 Depth=1
	s_delay_alu instid0(VALU_DEP_1)
	v_or_b32_e32 v11, 0x7800, v11
; %bb.6381:                             ;   in Loop: Header=BB0_7 Depth=1
	s_or_b32 exec_lo, exec_lo, s82
.LBB0_6382:                             ;   in Loop: Header=BB0_7 Depth=1
	s_and_not1_saveexec_b32 s81, s81
; %bb.6383:                             ;   in Loop: Header=BB0_7 Depth=1
	s_delay_alu instid0(VALU_DEP_1)
	v_or_b32_e32 v11, 0x7c00, v11
; %bb.6384:                             ;   in Loop: Header=BB0_7 Depth=1
	s_or_b32 exec_lo, exec_lo, s81
.LBB0_6385:                             ;   in Loop: Header=BB0_7 Depth=1
	s_delay_alu instid0(SALU_CYCLE_1) | instskip(SKIP_1) | instid1(SALU_CYCLE_1)
	s_or_b32 exec_lo, exec_lo, s63
	s_or_b32 s63, s33, 58
	v_cmp_ge_u32_e32 vcc_lo, s63, v0
	s_and_saveexec_b32 s63, vcc_lo
	s_delay_alu instid0(SALU_CYCLE_1)
	s_xor_b32 s63, exec_lo, s63
; %bb.6386:                             ;   in Loop: Header=BB0_7 Depth=1
	v_add_nc_u32_e32 v11, 0x7c0000, v11
; %bb.6387:                             ;   in Loop: Header=BB0_7 Depth=1
	s_and_not1_saveexec_b32 s63, s63
	s_cbranch_execz .LBB0_6511
; %bb.6388:                             ;   in Loop: Header=BB0_7 Depth=1
	s_add_co_i32 s81, s62, 0
	s_delay_alu instid0(SALU_CYCLE_1)
	v_mov_b32_e32 v1, s81
	s_mov_b32 s81, exec_lo
	ds_load_2addr_b64 v[12:15], v1 offset0:174 offset1:175
	ds_load_b64 v[16:17], v1 offset:1408
	s_wait_dscnt 0x1
	v_mul_f64_e32 v[8:9], v[4:5], v[14:15]
	s_delay_alu instid0(VALU_DEP_1) | instskip(SKIP_1) | instid1(VALU_DEP_1)
	v_fmac_f64_e32 v[8:9], v[2:3], v[12:13]
	s_wait_dscnt 0x0
	v_fmac_f64_e32 v[8:9], v[6:7], v[16:17]
	s_delay_alu instid0(VALU_DEP_1)
	v_cmpx_ngt_f64_e32 s[60:61], v[8:9]
	s_xor_b32 s81, exec_lo, s81
	s_cbranch_execz .LBB0_6508
; %bb.6389:                             ;   in Loop: Header=BB0_7 Depth=1
	s_mov_b32 s82, exec_lo
	v_cmpx_ngt_f64_e32 s[66:67], v[8:9]
	s_xor_b32 s82, exec_lo, s82
	s_cbranch_execz .LBB0_6505
; %bb.6390:                             ;   in Loop: Header=BB0_7 Depth=1
	s_mov_b32 s83, exec_lo
	;; [unrolled: 5-line block ×21, first 2 shown]
	v_cmpx_ngt_f64_e32 s[18:19], v[8:9]
	s_xor_b32 s104, exec_lo, s104
	s_cbranch_execz .LBB0_6445
; %bb.6410:                             ;   in Loop: Header=BB0_7 Depth=1
	s_mov_b32 vcc_hi, exec_lo
	v_cmpx_ngt_f64_e32 s[16:17], v[8:9]
	s_xor_b32 vcc_hi, exec_lo, vcc_hi
	s_delay_alu instid0(SALU_CYCLE_1)
	v_writelane_b32 v18, vcc_hi, 0
	s_cbranch_execz .LBB0_6442
; %bb.6411:                             ;   in Loop: Header=BB0_7 Depth=1
	s_mov_b32 vcc_hi, exec_lo
	v_cmpx_ngt_f64_e32 s[50:51], v[8:9]
	s_xor_b32 vcc_hi, exec_lo, vcc_hi
	s_delay_alu instid0(SALU_CYCLE_1)
	v_writelane_b32 v18, vcc_hi, 1
	;; [unrolled: 7-line block ×8, first 2 shown]
	s_cbranch_execz .LBB0_6421
; %bb.6418:                             ;   in Loop: Header=BB0_7 Depth=1
	s_mov_b32 vcc_lo, exec_lo
	v_cmpx_gt_f64_e32 s[36:37], v[8:9]
; %bb.6419:                             ;   in Loop: Header=BB0_7 Depth=1
	v_add_nc_u32_e32 v11, 0x40000, v11
; %bb.6420:                             ;   in Loop: Header=BB0_7 Depth=1
	s_or_b32 exec_lo, exec_lo, vcc_lo
.LBB0_6421:                             ;   in Loop: Header=BB0_7 Depth=1
	s_delay_alu instid0(VALU_DEP_1)
	v_readlane_b32 vcc_lo, v18, 8
	s_and_not1_saveexec_b32 vcc_lo, vcc_lo
; %bb.6422:                             ;   in Loop: Header=BB0_7 Depth=1
	v_add_nc_u32_e32 v11, 0x80000, v11
; %bb.6423:                             ;   in Loop: Header=BB0_7 Depth=1
	s_or_b32 exec_lo, exec_lo, vcc_lo
.LBB0_6424:                             ;   in Loop: Header=BB0_7 Depth=1
	s_delay_alu instid0(VALU_DEP_1)
	v_readlane_b32 vcc_lo, v18, 6
	s_and_not1_saveexec_b32 vcc_lo, vcc_lo
; %bb.6425:                             ;   in Loop: Header=BB0_7 Depth=1
	v_add_nc_u32_e32 v11, 0xc0000, v11
; %bb.6426:                             ;   in Loop: Header=BB0_7 Depth=1
	s_or_b32 exec_lo, exec_lo, vcc_lo
.LBB0_6427:                             ;   in Loop: Header=BB0_7 Depth=1
	s_delay_alu instid0(VALU_DEP_1)
	v_readlane_b32 vcc_lo, v18, 5
	s_and_not1_saveexec_b32 vcc_lo, vcc_lo
; %bb.6428:                             ;   in Loop: Header=BB0_7 Depth=1
	v_add_nc_u32_e32 v11, 0x100000, v11
; %bb.6429:                             ;   in Loop: Header=BB0_7 Depth=1
	s_or_b32 exec_lo, exec_lo, vcc_lo
.LBB0_6430:                             ;   in Loop: Header=BB0_7 Depth=1
	s_delay_alu instid0(VALU_DEP_1)
	v_readlane_b32 vcc_lo, v18, 4
	s_and_not1_saveexec_b32 vcc_lo, vcc_lo
; %bb.6431:                             ;   in Loop: Header=BB0_7 Depth=1
	v_add_nc_u32_e32 v11, 0x140000, v11
; %bb.6432:                             ;   in Loop: Header=BB0_7 Depth=1
	s_or_b32 exec_lo, exec_lo, vcc_lo
.LBB0_6433:                             ;   in Loop: Header=BB0_7 Depth=1
	s_delay_alu instid0(VALU_DEP_1)
	v_readlane_b32 vcc_lo, v18, 3
	s_and_not1_saveexec_b32 vcc_lo, vcc_lo
; %bb.6434:                             ;   in Loop: Header=BB0_7 Depth=1
	v_add_nc_u32_e32 v11, 0x180000, v11
; %bb.6435:                             ;   in Loop: Header=BB0_7 Depth=1
	s_or_b32 exec_lo, exec_lo, vcc_lo
.LBB0_6436:                             ;   in Loop: Header=BB0_7 Depth=1
	s_delay_alu instid0(VALU_DEP_1)
	v_readlane_b32 vcc_lo, v18, 2
	s_and_not1_saveexec_b32 vcc_lo, vcc_lo
; %bb.6437:                             ;   in Loop: Header=BB0_7 Depth=1
	v_add_nc_u32_e32 v11, 0x1c0000, v11
; %bb.6438:                             ;   in Loop: Header=BB0_7 Depth=1
	s_or_b32 exec_lo, exec_lo, vcc_lo
.LBB0_6439:                             ;   in Loop: Header=BB0_7 Depth=1
	s_delay_alu instid0(VALU_DEP_1)
	v_readlane_b32 vcc_lo, v18, 1
	s_and_not1_saveexec_b32 vcc_lo, vcc_lo
; %bb.6440:                             ;   in Loop: Header=BB0_7 Depth=1
	v_add_nc_u32_e32 v11, 0x200000, v11
; %bb.6441:                             ;   in Loop: Header=BB0_7 Depth=1
	s_or_b32 exec_lo, exec_lo, vcc_lo
.LBB0_6442:                             ;   in Loop: Header=BB0_7 Depth=1
	s_delay_alu instid0(VALU_DEP_1)
	v_readlane_b32 vcc_lo, v18, 0
	s_and_not1_saveexec_b32 vcc_lo, vcc_lo
; %bb.6443:                             ;   in Loop: Header=BB0_7 Depth=1
	v_add_nc_u32_e32 v11, 0x240000, v11
; %bb.6444:                             ;   in Loop: Header=BB0_7 Depth=1
	s_or_b32 exec_lo, exec_lo, vcc_lo
.LBB0_6445:                             ;   in Loop: Header=BB0_7 Depth=1
	s_and_not1_saveexec_b32 s104, s104
; %bb.6446:                             ;   in Loop: Header=BB0_7 Depth=1
	s_delay_alu instid0(VALU_DEP_1)
	v_add_nc_u32_e32 v11, 0x280000, v11
; %bb.6447:                             ;   in Loop: Header=BB0_7 Depth=1
	s_or_b32 exec_lo, exec_lo, s104
.LBB0_6448:                             ;   in Loop: Header=BB0_7 Depth=1
	s_and_not1_saveexec_b32 s101, s101
; %bb.6449:                             ;   in Loop: Header=BB0_7 Depth=1
	s_delay_alu instid0(VALU_DEP_1)
	v_add_nc_u32_e32 v11, 0x2c0000, v11
; %bb.6450:                             ;   in Loop: Header=BB0_7 Depth=1
	s_or_b32 exec_lo, exec_lo, s101
.LBB0_6451:                             ;   in Loop: Header=BB0_7 Depth=1
	s_and_not1_saveexec_b32 s100, s100
; %bb.6452:                             ;   in Loop: Header=BB0_7 Depth=1
	s_delay_alu instid0(VALU_DEP_1)
	v_add_nc_u32_e32 v11, 0x300000, v11
; %bb.6453:                             ;   in Loop: Header=BB0_7 Depth=1
	s_or_b32 exec_lo, exec_lo, s100
.LBB0_6454:                             ;   in Loop: Header=BB0_7 Depth=1
	s_and_not1_saveexec_b32 s99, s99
; %bb.6455:                             ;   in Loop: Header=BB0_7 Depth=1
	s_delay_alu instid0(VALU_DEP_1)
	v_add_nc_u32_e32 v11, 0x340000, v11
; %bb.6456:                             ;   in Loop: Header=BB0_7 Depth=1
	s_or_b32 exec_lo, exec_lo, s99
.LBB0_6457:                             ;   in Loop: Header=BB0_7 Depth=1
	s_and_not1_saveexec_b32 s98, s98
; %bb.6458:                             ;   in Loop: Header=BB0_7 Depth=1
	s_delay_alu instid0(VALU_DEP_1)
	v_add_nc_u32_e32 v11, 0x380000, v11
; %bb.6459:                             ;   in Loop: Header=BB0_7 Depth=1
	s_or_b32 exec_lo, exec_lo, s98
.LBB0_6460:                             ;   in Loop: Header=BB0_7 Depth=1
	s_and_not1_saveexec_b32 s97, s97
; %bb.6461:                             ;   in Loop: Header=BB0_7 Depth=1
	s_delay_alu instid0(VALU_DEP_1)
	v_add_nc_u32_e32 v11, 0x3c0000, v11
; %bb.6462:                             ;   in Loop: Header=BB0_7 Depth=1
	s_or_b32 exec_lo, exec_lo, s97
.LBB0_6463:                             ;   in Loop: Header=BB0_7 Depth=1
	s_and_not1_saveexec_b32 s96, s96
; %bb.6464:                             ;   in Loop: Header=BB0_7 Depth=1
	s_delay_alu instid0(VALU_DEP_1)
	v_add_nc_u32_e32 v11, 0x400000, v11
; %bb.6465:                             ;   in Loop: Header=BB0_7 Depth=1
	s_or_b32 exec_lo, exec_lo, s96
.LBB0_6466:                             ;   in Loop: Header=BB0_7 Depth=1
	s_and_not1_saveexec_b32 s95, s95
; %bb.6467:                             ;   in Loop: Header=BB0_7 Depth=1
	s_delay_alu instid0(VALU_DEP_1)
	v_add_nc_u32_e32 v11, 0x440000, v11
; %bb.6468:                             ;   in Loop: Header=BB0_7 Depth=1
	s_or_b32 exec_lo, exec_lo, s95
.LBB0_6469:                             ;   in Loop: Header=BB0_7 Depth=1
	s_and_not1_saveexec_b32 s94, s94
; %bb.6470:                             ;   in Loop: Header=BB0_7 Depth=1
	s_delay_alu instid0(VALU_DEP_1)
	v_add_nc_u32_e32 v11, 0x480000, v11
; %bb.6471:                             ;   in Loop: Header=BB0_7 Depth=1
	s_or_b32 exec_lo, exec_lo, s94
.LBB0_6472:                             ;   in Loop: Header=BB0_7 Depth=1
	s_and_not1_saveexec_b32 s93, s93
; %bb.6473:                             ;   in Loop: Header=BB0_7 Depth=1
	s_delay_alu instid0(VALU_DEP_1)
	v_add_nc_u32_e32 v11, 0x4c0000, v11
; %bb.6474:                             ;   in Loop: Header=BB0_7 Depth=1
	s_or_b32 exec_lo, exec_lo, s93
.LBB0_6475:                             ;   in Loop: Header=BB0_7 Depth=1
	s_and_not1_saveexec_b32 s92, s92
; %bb.6476:                             ;   in Loop: Header=BB0_7 Depth=1
	s_delay_alu instid0(VALU_DEP_1)
	v_add_nc_u32_e32 v11, 0x500000, v11
; %bb.6477:                             ;   in Loop: Header=BB0_7 Depth=1
	s_or_b32 exec_lo, exec_lo, s92
.LBB0_6478:                             ;   in Loop: Header=BB0_7 Depth=1
	s_and_not1_saveexec_b32 s91, s91
; %bb.6479:                             ;   in Loop: Header=BB0_7 Depth=1
	s_delay_alu instid0(VALU_DEP_1)
	v_add_nc_u32_e32 v11, 0x540000, v11
; %bb.6480:                             ;   in Loop: Header=BB0_7 Depth=1
	s_or_b32 exec_lo, exec_lo, s91
.LBB0_6481:                             ;   in Loop: Header=BB0_7 Depth=1
	s_and_not1_saveexec_b32 s90, s90
; %bb.6482:                             ;   in Loop: Header=BB0_7 Depth=1
	s_delay_alu instid0(VALU_DEP_1)
	v_add_nc_u32_e32 v11, 0x580000, v11
; %bb.6483:                             ;   in Loop: Header=BB0_7 Depth=1
	s_or_b32 exec_lo, exec_lo, s90
.LBB0_6484:                             ;   in Loop: Header=BB0_7 Depth=1
	s_and_not1_saveexec_b32 s89, s89
; %bb.6485:                             ;   in Loop: Header=BB0_7 Depth=1
	s_delay_alu instid0(VALU_DEP_1)
	v_add_nc_u32_e32 v11, 0x5c0000, v11
; %bb.6486:                             ;   in Loop: Header=BB0_7 Depth=1
	s_or_b32 exec_lo, exec_lo, s89
.LBB0_6487:                             ;   in Loop: Header=BB0_7 Depth=1
	s_and_not1_saveexec_b32 s88, s88
; %bb.6488:                             ;   in Loop: Header=BB0_7 Depth=1
	s_delay_alu instid0(VALU_DEP_1)
	v_add_nc_u32_e32 v11, 0x600000, v11
; %bb.6489:                             ;   in Loop: Header=BB0_7 Depth=1
	s_or_b32 exec_lo, exec_lo, s88
.LBB0_6490:                             ;   in Loop: Header=BB0_7 Depth=1
	s_and_not1_saveexec_b32 s87, s87
; %bb.6491:                             ;   in Loop: Header=BB0_7 Depth=1
	s_delay_alu instid0(VALU_DEP_1)
	v_add_nc_u32_e32 v11, 0x640000, v11
; %bb.6492:                             ;   in Loop: Header=BB0_7 Depth=1
	s_or_b32 exec_lo, exec_lo, s87
.LBB0_6493:                             ;   in Loop: Header=BB0_7 Depth=1
	s_and_not1_saveexec_b32 s86, s86
; %bb.6494:                             ;   in Loop: Header=BB0_7 Depth=1
	s_delay_alu instid0(VALU_DEP_1)
	v_add_nc_u32_e32 v11, 0x680000, v11
; %bb.6495:                             ;   in Loop: Header=BB0_7 Depth=1
	s_or_b32 exec_lo, exec_lo, s86
.LBB0_6496:                             ;   in Loop: Header=BB0_7 Depth=1
	s_and_not1_saveexec_b32 s85, s85
; %bb.6497:                             ;   in Loop: Header=BB0_7 Depth=1
	s_delay_alu instid0(VALU_DEP_1)
	v_add_nc_u32_e32 v11, 0x6c0000, v11
; %bb.6498:                             ;   in Loop: Header=BB0_7 Depth=1
	s_or_b32 exec_lo, exec_lo, s85
.LBB0_6499:                             ;   in Loop: Header=BB0_7 Depth=1
	s_and_not1_saveexec_b32 s84, s84
; %bb.6500:                             ;   in Loop: Header=BB0_7 Depth=1
	s_delay_alu instid0(VALU_DEP_1)
	v_add_nc_u32_e32 v11, 0x700000, v11
; %bb.6501:                             ;   in Loop: Header=BB0_7 Depth=1
	s_or_b32 exec_lo, exec_lo, s84
.LBB0_6502:                             ;   in Loop: Header=BB0_7 Depth=1
	s_and_not1_saveexec_b32 s83, s83
; %bb.6503:                             ;   in Loop: Header=BB0_7 Depth=1
	s_delay_alu instid0(VALU_DEP_1)
	v_add_nc_u32_e32 v11, 0x740000, v11
; %bb.6504:                             ;   in Loop: Header=BB0_7 Depth=1
	s_or_b32 exec_lo, exec_lo, s83
.LBB0_6505:                             ;   in Loop: Header=BB0_7 Depth=1
	s_and_not1_saveexec_b32 s82, s82
; %bb.6506:                             ;   in Loop: Header=BB0_7 Depth=1
	s_delay_alu instid0(VALU_DEP_1)
	v_add_nc_u32_e32 v11, 0x780000, v11
; %bb.6507:                             ;   in Loop: Header=BB0_7 Depth=1
	s_or_b32 exec_lo, exec_lo, s82
.LBB0_6508:                             ;   in Loop: Header=BB0_7 Depth=1
	s_and_not1_saveexec_b32 s81, s81
; %bb.6509:                             ;   in Loop: Header=BB0_7 Depth=1
	s_delay_alu instid0(VALU_DEP_1)
	v_add_nc_u32_e32 v11, 0x7c0000, v11
; %bb.6510:                             ;   in Loop: Header=BB0_7 Depth=1
	s_or_b32 exec_lo, exec_lo, s81
.LBB0_6511:                             ;   in Loop: Header=BB0_7 Depth=1
	s_delay_alu instid0(SALU_CYCLE_1) | instskip(SKIP_1) | instid1(SALU_CYCLE_1)
	s_or_b32 exec_lo, exec_lo, s63
	s_or_b32 s63, s33, 59
	v_cmp_ge_u32_e32 vcc_lo, s63, v0
	s_and_saveexec_b32 s63, vcc_lo
	s_delay_alu instid0(SALU_CYCLE_1)
	s_xor_b32 s63, exec_lo, s63
; %bb.6512:                             ;   in Loop: Header=BB0_7 Depth=1
	v_add_nc_u32_e32 v11, 0x7c000000, v11
; %bb.6513:                             ;   in Loop: Header=BB0_7 Depth=1
	s_and_not1_saveexec_b32 s63, s63
	s_cbranch_execz .LBB0_6637
; %bb.6514:                             ;   in Loop: Header=BB0_7 Depth=1
	s_add_co_i32 s81, s62, 0
	s_delay_alu instid0(SALU_CYCLE_1)
	v_mov_b32_e32 v1, s81
	s_mov_b32 s81, exec_lo
	ds_load_2addr_b64 v[12:15], v1 offset0:177 offset1:178
	ds_load_b64 v[16:17], v1 offset:1432
	s_wait_dscnt 0x1
	v_mul_f64_e32 v[8:9], v[4:5], v[14:15]
	s_delay_alu instid0(VALU_DEP_1) | instskip(SKIP_1) | instid1(VALU_DEP_1)
	v_fmac_f64_e32 v[8:9], v[2:3], v[12:13]
	s_wait_dscnt 0x0
	v_fmac_f64_e32 v[8:9], v[6:7], v[16:17]
	s_delay_alu instid0(VALU_DEP_1)
	v_cmpx_ngt_f64_e32 s[60:61], v[8:9]
	s_xor_b32 s81, exec_lo, s81
	s_cbranch_execz .LBB0_6634
; %bb.6515:                             ;   in Loop: Header=BB0_7 Depth=1
	s_mov_b32 s82, exec_lo
	v_cmpx_ngt_f64_e32 s[66:67], v[8:9]
	s_xor_b32 s82, exec_lo, s82
	s_cbranch_execz .LBB0_6631
; %bb.6516:                             ;   in Loop: Header=BB0_7 Depth=1
	s_mov_b32 s83, exec_lo
	;; [unrolled: 5-line block ×21, first 2 shown]
	v_cmpx_ngt_f64_e32 s[18:19], v[8:9]
	s_xor_b32 s104, exec_lo, s104
	s_cbranch_execz .LBB0_6571
; %bb.6536:                             ;   in Loop: Header=BB0_7 Depth=1
	s_mov_b32 vcc_hi, exec_lo
	v_cmpx_ngt_f64_e32 s[16:17], v[8:9]
	s_xor_b32 vcc_hi, exec_lo, vcc_hi
	s_delay_alu instid0(SALU_CYCLE_1)
	v_writelane_b32 v18, vcc_hi, 0
	s_cbranch_execz .LBB0_6568
; %bb.6537:                             ;   in Loop: Header=BB0_7 Depth=1
	s_mov_b32 vcc_hi, exec_lo
	v_cmpx_ngt_f64_e32 s[50:51], v[8:9]
	s_xor_b32 vcc_hi, exec_lo, vcc_hi
	s_delay_alu instid0(SALU_CYCLE_1)
	v_writelane_b32 v18, vcc_hi, 1
	;; [unrolled: 7-line block ×8, first 2 shown]
	s_cbranch_execz .LBB0_6547
; %bb.6544:                             ;   in Loop: Header=BB0_7 Depth=1
	s_mov_b32 vcc_lo, exec_lo
	v_cmpx_gt_f64_e32 s[36:37], v[8:9]
; %bb.6545:                             ;   in Loop: Header=BB0_7 Depth=1
	v_add_nc_u32_e32 v11, 0x4000000, v11
; %bb.6546:                             ;   in Loop: Header=BB0_7 Depth=1
	s_or_b32 exec_lo, exec_lo, vcc_lo
.LBB0_6547:                             ;   in Loop: Header=BB0_7 Depth=1
	s_delay_alu instid0(VALU_DEP_1)
	v_readlane_b32 vcc_lo, v18, 8
	s_and_not1_saveexec_b32 vcc_lo, vcc_lo
; %bb.6548:                             ;   in Loop: Header=BB0_7 Depth=1
	v_add_nc_u32_e32 v11, 0x8000000, v11
; %bb.6549:                             ;   in Loop: Header=BB0_7 Depth=1
	s_or_b32 exec_lo, exec_lo, vcc_lo
.LBB0_6550:                             ;   in Loop: Header=BB0_7 Depth=1
	s_delay_alu instid0(VALU_DEP_1)
	v_readlane_b32 vcc_lo, v18, 6
	s_and_not1_saveexec_b32 vcc_lo, vcc_lo
; %bb.6551:                             ;   in Loop: Header=BB0_7 Depth=1
	v_add_nc_u32_e32 v11, 0xc000000, v11
; %bb.6552:                             ;   in Loop: Header=BB0_7 Depth=1
	s_or_b32 exec_lo, exec_lo, vcc_lo
.LBB0_6553:                             ;   in Loop: Header=BB0_7 Depth=1
	s_delay_alu instid0(VALU_DEP_1)
	v_readlane_b32 vcc_lo, v18, 5
	s_and_not1_saveexec_b32 vcc_lo, vcc_lo
; %bb.6554:                             ;   in Loop: Header=BB0_7 Depth=1
	v_add_nc_u32_e32 v11, 0x10000000, v11
; %bb.6555:                             ;   in Loop: Header=BB0_7 Depth=1
	s_or_b32 exec_lo, exec_lo, vcc_lo
.LBB0_6556:                             ;   in Loop: Header=BB0_7 Depth=1
	s_delay_alu instid0(VALU_DEP_1)
	v_readlane_b32 vcc_lo, v18, 4
	s_and_not1_saveexec_b32 vcc_lo, vcc_lo
; %bb.6557:                             ;   in Loop: Header=BB0_7 Depth=1
	v_add_nc_u32_e32 v11, 0x14000000, v11
; %bb.6558:                             ;   in Loop: Header=BB0_7 Depth=1
	s_or_b32 exec_lo, exec_lo, vcc_lo
.LBB0_6559:                             ;   in Loop: Header=BB0_7 Depth=1
	s_delay_alu instid0(VALU_DEP_1)
	v_readlane_b32 vcc_lo, v18, 3
	s_and_not1_saveexec_b32 vcc_lo, vcc_lo
; %bb.6560:                             ;   in Loop: Header=BB0_7 Depth=1
	v_add_nc_u32_e32 v11, 0x18000000, v11
; %bb.6561:                             ;   in Loop: Header=BB0_7 Depth=1
	s_or_b32 exec_lo, exec_lo, vcc_lo
.LBB0_6562:                             ;   in Loop: Header=BB0_7 Depth=1
	s_delay_alu instid0(VALU_DEP_1)
	v_readlane_b32 vcc_lo, v18, 2
	s_and_not1_saveexec_b32 vcc_lo, vcc_lo
; %bb.6563:                             ;   in Loop: Header=BB0_7 Depth=1
	v_add_nc_u32_e32 v11, 0x1c000000, v11
; %bb.6564:                             ;   in Loop: Header=BB0_7 Depth=1
	s_or_b32 exec_lo, exec_lo, vcc_lo
.LBB0_6565:                             ;   in Loop: Header=BB0_7 Depth=1
	s_delay_alu instid0(VALU_DEP_1)
	v_readlane_b32 vcc_lo, v18, 1
	s_and_not1_saveexec_b32 vcc_lo, vcc_lo
; %bb.6566:                             ;   in Loop: Header=BB0_7 Depth=1
	v_add_nc_u32_e32 v11, 0x20000000, v11
; %bb.6567:                             ;   in Loop: Header=BB0_7 Depth=1
	s_or_b32 exec_lo, exec_lo, vcc_lo
.LBB0_6568:                             ;   in Loop: Header=BB0_7 Depth=1
	s_delay_alu instid0(VALU_DEP_1)
	v_readlane_b32 vcc_lo, v18, 0
	s_and_not1_saveexec_b32 vcc_lo, vcc_lo
; %bb.6569:                             ;   in Loop: Header=BB0_7 Depth=1
	v_add_nc_u32_e32 v11, 0x24000000, v11
; %bb.6570:                             ;   in Loop: Header=BB0_7 Depth=1
	s_or_b32 exec_lo, exec_lo, vcc_lo
.LBB0_6571:                             ;   in Loop: Header=BB0_7 Depth=1
	s_and_not1_saveexec_b32 s104, s104
; %bb.6572:                             ;   in Loop: Header=BB0_7 Depth=1
	s_delay_alu instid0(VALU_DEP_1)
	v_add_nc_u32_e32 v11, 0x28000000, v11
; %bb.6573:                             ;   in Loop: Header=BB0_7 Depth=1
	s_or_b32 exec_lo, exec_lo, s104
.LBB0_6574:                             ;   in Loop: Header=BB0_7 Depth=1
	s_and_not1_saveexec_b32 s101, s101
; %bb.6575:                             ;   in Loop: Header=BB0_7 Depth=1
	s_delay_alu instid0(VALU_DEP_1)
	v_add_nc_u32_e32 v11, 0x2c000000, v11
; %bb.6576:                             ;   in Loop: Header=BB0_7 Depth=1
	s_or_b32 exec_lo, exec_lo, s101
.LBB0_6577:                             ;   in Loop: Header=BB0_7 Depth=1
	s_and_not1_saveexec_b32 s100, s100
; %bb.6578:                             ;   in Loop: Header=BB0_7 Depth=1
	s_delay_alu instid0(VALU_DEP_1)
	v_add_nc_u32_e32 v11, 0x30000000, v11
; %bb.6579:                             ;   in Loop: Header=BB0_7 Depth=1
	s_or_b32 exec_lo, exec_lo, s100
.LBB0_6580:                             ;   in Loop: Header=BB0_7 Depth=1
	s_and_not1_saveexec_b32 s99, s99
; %bb.6581:                             ;   in Loop: Header=BB0_7 Depth=1
	s_delay_alu instid0(VALU_DEP_1)
	v_add_nc_u32_e32 v11, 0x34000000, v11
; %bb.6582:                             ;   in Loop: Header=BB0_7 Depth=1
	s_or_b32 exec_lo, exec_lo, s99
.LBB0_6583:                             ;   in Loop: Header=BB0_7 Depth=1
	s_and_not1_saveexec_b32 s98, s98
; %bb.6584:                             ;   in Loop: Header=BB0_7 Depth=1
	s_delay_alu instid0(VALU_DEP_1)
	v_add_nc_u32_e32 v11, 0x38000000, v11
; %bb.6585:                             ;   in Loop: Header=BB0_7 Depth=1
	s_or_b32 exec_lo, exec_lo, s98
.LBB0_6586:                             ;   in Loop: Header=BB0_7 Depth=1
	s_and_not1_saveexec_b32 s97, s97
; %bb.6587:                             ;   in Loop: Header=BB0_7 Depth=1
	s_delay_alu instid0(VALU_DEP_1)
	v_add_nc_u32_e32 v11, 0x3c000000, v11
; %bb.6588:                             ;   in Loop: Header=BB0_7 Depth=1
	s_or_b32 exec_lo, exec_lo, s97
.LBB0_6589:                             ;   in Loop: Header=BB0_7 Depth=1
	s_and_not1_saveexec_b32 s96, s96
; %bb.6590:                             ;   in Loop: Header=BB0_7 Depth=1
	s_delay_alu instid0(VALU_DEP_1)
	v_add_nc_u32_e32 v11, 2.0, v11
; %bb.6591:                             ;   in Loop: Header=BB0_7 Depth=1
	s_or_b32 exec_lo, exec_lo, s96
.LBB0_6592:                             ;   in Loop: Header=BB0_7 Depth=1
	s_and_not1_saveexec_b32 s95, s95
; %bb.6593:                             ;   in Loop: Header=BB0_7 Depth=1
	s_delay_alu instid0(VALU_DEP_1)
	v_add_nc_u32_e32 v11, 0x44000000, v11
; %bb.6594:                             ;   in Loop: Header=BB0_7 Depth=1
	s_or_b32 exec_lo, exec_lo, s95
.LBB0_6595:                             ;   in Loop: Header=BB0_7 Depth=1
	s_and_not1_saveexec_b32 s94, s94
; %bb.6596:                             ;   in Loop: Header=BB0_7 Depth=1
	s_delay_alu instid0(VALU_DEP_1)
	v_add_nc_u32_e32 v11, 0x48000000, v11
; %bb.6597:                             ;   in Loop: Header=BB0_7 Depth=1
	s_or_b32 exec_lo, exec_lo, s94
.LBB0_6598:                             ;   in Loop: Header=BB0_7 Depth=1
	s_and_not1_saveexec_b32 s93, s93
; %bb.6599:                             ;   in Loop: Header=BB0_7 Depth=1
	s_delay_alu instid0(VALU_DEP_1)
	v_add_nc_u32_e32 v11, 0x4c000000, v11
; %bb.6600:                             ;   in Loop: Header=BB0_7 Depth=1
	s_or_b32 exec_lo, exec_lo, s93
.LBB0_6601:                             ;   in Loop: Header=BB0_7 Depth=1
	s_and_not1_saveexec_b32 s92, s92
; %bb.6602:                             ;   in Loop: Header=BB0_7 Depth=1
	s_delay_alu instid0(VALU_DEP_1)
	v_add_nc_u32_e32 v11, 0x50000000, v11
; %bb.6603:                             ;   in Loop: Header=BB0_7 Depth=1
	s_or_b32 exec_lo, exec_lo, s92
.LBB0_6604:                             ;   in Loop: Header=BB0_7 Depth=1
	s_and_not1_saveexec_b32 s91, s91
; %bb.6605:                             ;   in Loop: Header=BB0_7 Depth=1
	s_delay_alu instid0(VALU_DEP_1)
	v_add_nc_u32_e32 v11, 0x54000000, v11
; %bb.6606:                             ;   in Loop: Header=BB0_7 Depth=1
	s_or_b32 exec_lo, exec_lo, s91
.LBB0_6607:                             ;   in Loop: Header=BB0_7 Depth=1
	s_and_not1_saveexec_b32 s90, s90
; %bb.6608:                             ;   in Loop: Header=BB0_7 Depth=1
	s_delay_alu instid0(VALU_DEP_1)
	v_add_nc_u32_e32 v11, 0x58000000, v11
; %bb.6609:                             ;   in Loop: Header=BB0_7 Depth=1
	s_or_b32 exec_lo, exec_lo, s90
.LBB0_6610:                             ;   in Loop: Header=BB0_7 Depth=1
	s_and_not1_saveexec_b32 s89, s89
; %bb.6611:                             ;   in Loop: Header=BB0_7 Depth=1
	s_delay_alu instid0(VALU_DEP_1)
	v_add_nc_u32_e32 v11, 0x5c000000, v11
; %bb.6612:                             ;   in Loop: Header=BB0_7 Depth=1
	s_or_b32 exec_lo, exec_lo, s89
.LBB0_6613:                             ;   in Loop: Header=BB0_7 Depth=1
	s_and_not1_saveexec_b32 s88, s88
; %bb.6614:                             ;   in Loop: Header=BB0_7 Depth=1
	s_delay_alu instid0(VALU_DEP_1)
	v_add_nc_u32_e32 v11, 0x60000000, v11
; %bb.6615:                             ;   in Loop: Header=BB0_7 Depth=1
	s_or_b32 exec_lo, exec_lo, s88
.LBB0_6616:                             ;   in Loop: Header=BB0_7 Depth=1
	s_and_not1_saveexec_b32 s87, s87
; %bb.6617:                             ;   in Loop: Header=BB0_7 Depth=1
	s_delay_alu instid0(VALU_DEP_1)
	v_add_nc_u32_e32 v11, 0x64000000, v11
; %bb.6618:                             ;   in Loop: Header=BB0_7 Depth=1
	s_or_b32 exec_lo, exec_lo, s87
.LBB0_6619:                             ;   in Loop: Header=BB0_7 Depth=1
	s_and_not1_saveexec_b32 s86, s86
; %bb.6620:                             ;   in Loop: Header=BB0_7 Depth=1
	s_delay_alu instid0(VALU_DEP_1)
	v_add_nc_u32_e32 v11, 0x68000000, v11
; %bb.6621:                             ;   in Loop: Header=BB0_7 Depth=1
	s_or_b32 exec_lo, exec_lo, s86
.LBB0_6622:                             ;   in Loop: Header=BB0_7 Depth=1
	s_and_not1_saveexec_b32 s85, s85
; %bb.6623:                             ;   in Loop: Header=BB0_7 Depth=1
	s_delay_alu instid0(VALU_DEP_1)
	v_add_nc_u32_e32 v11, 0x6c000000, v11
; %bb.6624:                             ;   in Loop: Header=BB0_7 Depth=1
	s_or_b32 exec_lo, exec_lo, s85
.LBB0_6625:                             ;   in Loop: Header=BB0_7 Depth=1
	s_and_not1_saveexec_b32 s84, s84
; %bb.6626:                             ;   in Loop: Header=BB0_7 Depth=1
	s_delay_alu instid0(VALU_DEP_1)
	v_add_nc_u32_e32 v11, 0x70000000, v11
; %bb.6627:                             ;   in Loop: Header=BB0_7 Depth=1
	s_or_b32 exec_lo, exec_lo, s84
.LBB0_6628:                             ;   in Loop: Header=BB0_7 Depth=1
	s_and_not1_saveexec_b32 s83, s83
; %bb.6629:                             ;   in Loop: Header=BB0_7 Depth=1
	s_delay_alu instid0(VALU_DEP_1)
	v_add_nc_u32_e32 v11, 0x74000000, v11
; %bb.6630:                             ;   in Loop: Header=BB0_7 Depth=1
	s_or_b32 exec_lo, exec_lo, s83
.LBB0_6631:                             ;   in Loop: Header=BB0_7 Depth=1
	s_and_not1_saveexec_b32 s82, s82
; %bb.6632:                             ;   in Loop: Header=BB0_7 Depth=1
	s_delay_alu instid0(VALU_DEP_1)
	v_add_nc_u32_e32 v11, 0x78000000, v11
; %bb.6633:                             ;   in Loop: Header=BB0_7 Depth=1
	s_or_b32 exec_lo, exec_lo, s82
.LBB0_6634:                             ;   in Loop: Header=BB0_7 Depth=1
	s_and_not1_saveexec_b32 s81, s81
; %bb.6635:                             ;   in Loop: Header=BB0_7 Depth=1
	s_delay_alu instid0(VALU_DEP_1)
	v_add_nc_u32_e32 v11, 0x7c000000, v11
; %bb.6636:                             ;   in Loop: Header=BB0_7 Depth=1
	s_or_b32 exec_lo, exec_lo, s81
.LBB0_6637:                             ;   in Loop: Header=BB0_7 Depth=1
	s_delay_alu instid0(SALU_CYCLE_1)
	s_or_b32 exec_lo, exec_lo, s63
	v_lshl_add_u32 v8, s80, 12, v10
	v_mov_b32_e32 v1, 0x7c
	s_or_b32 s63, s33, 60
	s_mov_b32 s80, exec_lo
	global_store_b32 v8, v11, s[34:35] scale_offset
	s_wait_xcnt 0x0
	v_cmpx_lt_u32_e64 s63, v0
	s_cbranch_execz .LBB0_6701
; %bb.6638:                             ;   in Loop: Header=BB0_7 Depth=1
	s_add_co_i32 s81, s62, 0
	s_delay_alu instid0(SALU_CYCLE_1)
	v_mov_b32_e32 v1, s81
	s_mov_b32 s81, exec_lo
	ds_load_2addr_b64 v[12:15], v1 offset0:180 offset1:181
	ds_load_b64 v[16:17], v1 offset:1456
	v_mov_b32_e32 v1, 0x7c
	s_wait_dscnt 0x1
	v_mul_f64_e32 v[8:9], v[4:5], v[14:15]
	s_delay_alu instid0(VALU_DEP_1) | instskip(SKIP_1) | instid1(VALU_DEP_1)
	v_fmac_f64_e32 v[8:9], v[2:3], v[12:13]
	s_wait_dscnt 0x0
	v_fmac_f64_e32 v[8:9], v[6:7], v[16:17]
	s_delay_alu instid0(VALU_DEP_1)
	v_cmpx_ngt_f64_e32 s[60:61], v[8:9]
	s_cbranch_execz .LBB0_6700
; %bb.6639:                             ;   in Loop: Header=BB0_7 Depth=1
	v_mov_b32_e32 v1, 0x78
	s_mov_b32 s82, exec_lo
	v_cmpx_ngt_f64_e32 s[66:67], v[8:9]
	s_cbranch_execz .LBB0_6699
; %bb.6640:                             ;   in Loop: Header=BB0_7 Depth=1
	v_mov_b32_e32 v1, 0x74
	s_mov_b32 s83, exec_lo
	;; [unrolled: 5-line block ×21, first 2 shown]
	v_cmpx_ngt_f64_e32 s[18:19], v[8:9]
	s_cbranch_execz .LBB0_6679
; %bb.6660:                             ;   in Loop: Header=BB0_7 Depth=1
	v_mov_b32_e32 v1, 36
	v_cmp_ngt_f64_e32 vcc_lo, s[16:17], v[8:9]
	s_mov_b32 vcc_hi, exec_lo
	s_delay_alu instid0(SALU_CYCLE_1)
	s_and_b32 vcc_lo, vcc_hi, vcc_lo
	v_writelane_b32 v18, vcc_hi, 0
	s_mov_b32 exec_lo, vcc_lo
	s_cbranch_execz .LBB0_6678
; %bb.6661:                             ;   in Loop: Header=BB0_7 Depth=1
	v_mov_b32_e32 v1, 32
	v_cmp_ngt_f64_e32 vcc_lo, s[50:51], v[8:9]
	s_mov_b32 vcc_hi, exec_lo
	s_delay_alu instid0(SALU_CYCLE_1)
	s_and_b32 vcc_lo, vcc_hi, vcc_lo
	v_writelane_b32 v18, vcc_hi, 1
	s_mov_b32 exec_lo, vcc_lo
	s_cbranch_execz .LBB0_6677
; %bb.6662:                             ;   in Loop: Header=BB0_7 Depth=1
	v_mov_b32_e32 v1, 28
	v_cmp_ngt_f64_e32 vcc_lo, s[48:49], v[8:9]
	s_mov_b32 vcc_hi, exec_lo
	s_delay_alu instid0(SALU_CYCLE_1)
	s_and_b32 vcc_lo, vcc_hi, vcc_lo
	v_writelane_b32 v18, vcc_hi, 2
	s_mov_b32 exec_lo, vcc_lo
	s_cbranch_execz .LBB0_6676
; %bb.6663:                             ;   in Loop: Header=BB0_7 Depth=1
	v_mov_b32_e32 v1, 24
	v_cmp_ngt_f64_e32 vcc_lo, s[46:47], v[8:9]
	s_mov_b32 vcc_hi, exec_lo
	s_delay_alu instid0(SALU_CYCLE_1)
	s_and_b32 vcc_lo, vcc_hi, vcc_lo
	v_writelane_b32 v18, vcc_hi, 3
	s_mov_b32 exec_lo, vcc_lo
	s_cbranch_execz .LBB0_6675
; %bb.6664:                             ;   in Loop: Header=BB0_7 Depth=1
	v_mov_b32_e32 v1, 20
	v_cmp_ngt_f64_e32 vcc_lo, s[44:45], v[8:9]
	s_mov_b32 vcc_hi, exec_lo
	s_delay_alu instid0(SALU_CYCLE_1)
	s_and_b32 vcc_lo, vcc_hi, vcc_lo
	v_writelane_b32 v18, vcc_hi, 4
	s_mov_b32 exec_lo, vcc_lo
	s_cbranch_execz .LBB0_6674
; %bb.6665:                             ;   in Loop: Header=BB0_7 Depth=1
	v_mov_b32_e32 v1, 16
	v_cmp_ngt_f64_e32 vcc_lo, s[42:43], v[8:9]
	s_mov_b32 vcc_hi, exec_lo
	s_delay_alu instid0(SALU_CYCLE_1)
	s_and_b32 vcc_lo, vcc_hi, vcc_lo
	v_writelane_b32 v18, vcc_hi, 5
	s_mov_b32 exec_lo, vcc_lo
	s_cbranch_execz .LBB0_6673
; %bb.6666:                             ;   in Loop: Header=BB0_7 Depth=1
	v_mov_b32_e32 v1, 12
	v_cmp_ngt_f64_e32 vcc_lo, s[40:41], v[8:9]
	s_mov_b32 vcc_hi, exec_lo
	s_delay_alu instid0(SALU_CYCLE_1)
	s_and_b32 vcc_lo, vcc_hi, vcc_lo
	v_writelane_b32 v18, vcc_hi, 6
	s_mov_b32 exec_lo, vcc_lo
	s_cbranch_execz .LBB0_6672
; %bb.6667:                             ;   in Loop: Header=BB0_7 Depth=1
	v_mov_b32_e32 v1, 8
	v_cmp_ngt_f64_e32 vcc_lo, s[38:39], v[8:9]
	s_mov_b32 vcc_hi, exec_lo
	s_delay_alu instid0(SALU_CYCLE_1)
	s_and_b32 vcc_lo, vcc_hi, vcc_lo
	v_writelane_b32 v18, vcc_hi, 8
	s_mov_b32 exec_lo, vcc_lo
	s_cbranch_execz .LBB0_6671
; %bb.6668:                             ;   in Loop: Header=BB0_7 Depth=1
	v_mov_b32_e32 v1, 0
	s_mov_b32 vcc_hi, exec_lo
	v_cmpx_gt_f64_e32 s[36:37], v[8:9]
; %bb.6669:                             ;   in Loop: Header=BB0_7 Depth=1
	v_mov_b32_e32 v1, 4
; %bb.6670:                             ;   in Loop: Header=BB0_7 Depth=1
	s_or_b32 exec_lo, exec_lo, vcc_hi
.LBB0_6671:                             ;   in Loop: Header=BB0_7 Depth=1
	s_delay_alu instid0(VALU_DEP_1)
	v_readlane_b32 vcc_lo, v18, 8
	s_or_b32 exec_lo, exec_lo, vcc_lo
.LBB0_6672:                             ;   in Loop: Header=BB0_7 Depth=1
	s_delay_alu instid0(VALU_DEP_1)
	v_readlane_b32 vcc_lo, v18, 6
	s_or_b32 exec_lo, exec_lo, vcc_lo
.LBB0_6673:                             ;   in Loop: Header=BB0_7 Depth=1
	s_delay_alu instid0(VALU_DEP_1)
	v_readlane_b32 vcc_lo, v18, 5
	s_or_b32 exec_lo, exec_lo, vcc_lo
.LBB0_6674:                             ;   in Loop: Header=BB0_7 Depth=1
	s_delay_alu instid0(VALU_DEP_1)
	v_readlane_b32 vcc_lo, v18, 4
	s_or_b32 exec_lo, exec_lo, vcc_lo
.LBB0_6675:                             ;   in Loop: Header=BB0_7 Depth=1
	s_delay_alu instid0(VALU_DEP_1)
	v_readlane_b32 vcc_lo, v18, 3
	s_or_b32 exec_lo, exec_lo, vcc_lo
.LBB0_6676:                             ;   in Loop: Header=BB0_7 Depth=1
	s_delay_alu instid0(VALU_DEP_1)
	v_readlane_b32 vcc_lo, v18, 2
	s_or_b32 exec_lo, exec_lo, vcc_lo
.LBB0_6677:                             ;   in Loop: Header=BB0_7 Depth=1
	s_delay_alu instid0(VALU_DEP_1)
	v_readlane_b32 vcc_lo, v18, 1
	s_or_b32 exec_lo, exec_lo, vcc_lo
.LBB0_6678:                             ;   in Loop: Header=BB0_7 Depth=1
	s_delay_alu instid0(VALU_DEP_1)
	v_readlane_b32 vcc_lo, v18, 0
	s_or_b32 exec_lo, exec_lo, vcc_lo
.LBB0_6679:                             ;   in Loop: Header=BB0_7 Depth=1
	s_delay_alu instid0(SALU_CYCLE_1)
	s_or_b32 exec_lo, exec_lo, s104
.LBB0_6680:                             ;   in Loop: Header=BB0_7 Depth=1
	s_delay_alu instid0(SALU_CYCLE_1)
	s_or_b32 exec_lo, exec_lo, s101
.LBB0_6681:                             ;   in Loop: Header=BB0_7 Depth=1
	s_delay_alu instid0(SALU_CYCLE_1)
	s_or_b32 exec_lo, exec_lo, s100
.LBB0_6682:                             ;   in Loop: Header=BB0_7 Depth=1
	s_delay_alu instid0(SALU_CYCLE_1)
	s_or_b32 exec_lo, exec_lo, s99
.LBB0_6683:                             ;   in Loop: Header=BB0_7 Depth=1
	s_delay_alu instid0(SALU_CYCLE_1)
	s_or_b32 exec_lo, exec_lo, s98
.LBB0_6684:                             ;   in Loop: Header=BB0_7 Depth=1
	s_delay_alu instid0(SALU_CYCLE_1)
	s_or_b32 exec_lo, exec_lo, s97
.LBB0_6685:                             ;   in Loop: Header=BB0_7 Depth=1
	s_delay_alu instid0(SALU_CYCLE_1)
	s_or_b32 exec_lo, exec_lo, s96
.LBB0_6686:                             ;   in Loop: Header=BB0_7 Depth=1
	s_delay_alu instid0(SALU_CYCLE_1)
	s_or_b32 exec_lo, exec_lo, s95
.LBB0_6687:                             ;   in Loop: Header=BB0_7 Depth=1
	s_delay_alu instid0(SALU_CYCLE_1)
	s_or_b32 exec_lo, exec_lo, s94
.LBB0_6688:                             ;   in Loop: Header=BB0_7 Depth=1
	s_delay_alu instid0(SALU_CYCLE_1)
	s_or_b32 exec_lo, exec_lo, s93
.LBB0_6689:                             ;   in Loop: Header=BB0_7 Depth=1
	s_delay_alu instid0(SALU_CYCLE_1)
	s_or_b32 exec_lo, exec_lo, s92
.LBB0_6690:                             ;   in Loop: Header=BB0_7 Depth=1
	s_delay_alu instid0(SALU_CYCLE_1)
	s_or_b32 exec_lo, exec_lo, s91
.LBB0_6691:                             ;   in Loop: Header=BB0_7 Depth=1
	s_delay_alu instid0(SALU_CYCLE_1)
	s_or_b32 exec_lo, exec_lo, s90
.LBB0_6692:                             ;   in Loop: Header=BB0_7 Depth=1
	s_delay_alu instid0(SALU_CYCLE_1)
	s_or_b32 exec_lo, exec_lo, s89
.LBB0_6693:                             ;   in Loop: Header=BB0_7 Depth=1
	s_delay_alu instid0(SALU_CYCLE_1)
	s_or_b32 exec_lo, exec_lo, s88
.LBB0_6694:                             ;   in Loop: Header=BB0_7 Depth=1
	s_delay_alu instid0(SALU_CYCLE_1)
	s_or_b32 exec_lo, exec_lo, s87
.LBB0_6695:                             ;   in Loop: Header=BB0_7 Depth=1
	s_delay_alu instid0(SALU_CYCLE_1)
	s_or_b32 exec_lo, exec_lo, s86
.LBB0_6696:                             ;   in Loop: Header=BB0_7 Depth=1
	s_delay_alu instid0(SALU_CYCLE_1)
	s_or_b32 exec_lo, exec_lo, s85
.LBB0_6697:                             ;   in Loop: Header=BB0_7 Depth=1
	s_delay_alu instid0(SALU_CYCLE_1)
	s_or_b32 exec_lo, exec_lo, s84
.LBB0_6698:                             ;   in Loop: Header=BB0_7 Depth=1
	s_delay_alu instid0(SALU_CYCLE_1)
	s_or_b32 exec_lo, exec_lo, s83
.LBB0_6699:                             ;   in Loop: Header=BB0_7 Depth=1
	s_delay_alu instid0(SALU_CYCLE_1)
	s_or_b32 exec_lo, exec_lo, s82
.LBB0_6700:                             ;   in Loop: Header=BB0_7 Depth=1
	s_delay_alu instid0(SALU_CYCLE_1)
	s_or_b32 exec_lo, exec_lo, s81
.LBB0_6701:                             ;   in Loop: Header=BB0_7 Depth=1
	s_delay_alu instid0(SALU_CYCLE_1) | instskip(SKIP_1) | instid1(SALU_CYCLE_1)
	s_or_b32 exec_lo, exec_lo, s80
	s_or_b32 s80, s33, 61
	v_cmp_ge_u32_e32 vcc_lo, s80, v0
	s_and_saveexec_b32 s80, vcc_lo
	s_delay_alu instid0(SALU_CYCLE_1)
	s_xor_b32 s80, exec_lo, s80
; %bb.6702:                             ;   in Loop: Header=BB0_7 Depth=1
	v_or_b32_e32 v1, 0x7c00, v1
; %bb.6703:                             ;   in Loop: Header=BB0_7 Depth=1
	s_and_not1_saveexec_b32 s80, s80
	s_cbranch_execz .LBB0_6827
; %bb.6704:                             ;   in Loop: Header=BB0_7 Depth=1
	s_add_co_i32 s81, s62, 0
	s_delay_alu instid0(SALU_CYCLE_1)
	v_mov_b32_e32 v8, s81
	s_mov_b32 s81, exec_lo
	ds_load_2addr_b64 v[12:15], v8 offset0:183 offset1:184
	ds_load_b64 v[16:17], v8 offset:1480
	s_wait_dscnt 0x1
	v_mul_f64_e32 v[8:9], v[4:5], v[14:15]
	s_delay_alu instid0(VALU_DEP_1) | instskip(SKIP_1) | instid1(VALU_DEP_1)
	v_fmac_f64_e32 v[8:9], v[2:3], v[12:13]
	s_wait_dscnt 0x0
	v_fmac_f64_e32 v[8:9], v[6:7], v[16:17]
	s_delay_alu instid0(VALU_DEP_1)
	v_cmpx_ngt_f64_e32 s[60:61], v[8:9]
	s_xor_b32 s81, exec_lo, s81
	s_cbranch_execz .LBB0_6824
; %bb.6705:                             ;   in Loop: Header=BB0_7 Depth=1
	s_mov_b32 s82, exec_lo
	v_cmpx_ngt_f64_e32 s[66:67], v[8:9]
	s_xor_b32 s82, exec_lo, s82
	s_cbranch_execz .LBB0_6821
; %bb.6706:                             ;   in Loop: Header=BB0_7 Depth=1
	s_mov_b32 s83, exec_lo
	;; [unrolled: 5-line block ×21, first 2 shown]
	v_cmpx_ngt_f64_e32 s[18:19], v[8:9]
	s_xor_b32 s104, exec_lo, s104
	s_cbranch_execz .LBB0_6761
; %bb.6726:                             ;   in Loop: Header=BB0_7 Depth=1
	s_mov_b32 vcc_hi, exec_lo
	v_cmpx_ngt_f64_e32 s[16:17], v[8:9]
	s_xor_b32 vcc_hi, exec_lo, vcc_hi
	s_delay_alu instid0(SALU_CYCLE_1)
	v_writelane_b32 v18, vcc_hi, 0
	s_cbranch_execz .LBB0_6758
; %bb.6727:                             ;   in Loop: Header=BB0_7 Depth=1
	s_mov_b32 vcc_hi, exec_lo
	v_cmpx_ngt_f64_e32 s[50:51], v[8:9]
	s_xor_b32 vcc_hi, exec_lo, vcc_hi
	s_delay_alu instid0(SALU_CYCLE_1)
	v_writelane_b32 v18, vcc_hi, 1
	;; [unrolled: 7-line block ×8, first 2 shown]
	s_cbranch_execz .LBB0_6737
; %bb.6734:                             ;   in Loop: Header=BB0_7 Depth=1
	s_mov_b32 vcc_lo, exec_lo
	v_cmpx_gt_f64_e32 s[36:37], v[8:9]
; %bb.6735:                             ;   in Loop: Header=BB0_7 Depth=1
	v_or_b32_e32 v1, 0x400, v1
; %bb.6736:                             ;   in Loop: Header=BB0_7 Depth=1
	s_or_b32 exec_lo, exec_lo, vcc_lo
.LBB0_6737:                             ;   in Loop: Header=BB0_7 Depth=1
	s_delay_alu instid0(VALU_DEP_1)
	v_readlane_b32 vcc_lo, v18, 8
	s_and_not1_saveexec_b32 vcc_lo, vcc_lo
; %bb.6738:                             ;   in Loop: Header=BB0_7 Depth=1
	v_or_b32_e32 v1, 0x800, v1
; %bb.6739:                             ;   in Loop: Header=BB0_7 Depth=1
	s_or_b32 exec_lo, exec_lo, vcc_lo
.LBB0_6740:                             ;   in Loop: Header=BB0_7 Depth=1
	s_delay_alu instid0(VALU_DEP_1)
	v_readlane_b32 vcc_lo, v18, 6
	s_and_not1_saveexec_b32 vcc_lo, vcc_lo
; %bb.6741:                             ;   in Loop: Header=BB0_7 Depth=1
	v_or_b32_e32 v1, 0xc00, v1
; %bb.6742:                             ;   in Loop: Header=BB0_7 Depth=1
	s_or_b32 exec_lo, exec_lo, vcc_lo
.LBB0_6743:                             ;   in Loop: Header=BB0_7 Depth=1
	s_delay_alu instid0(VALU_DEP_1)
	v_readlane_b32 vcc_lo, v18, 5
	s_and_not1_saveexec_b32 vcc_lo, vcc_lo
; %bb.6744:                             ;   in Loop: Header=BB0_7 Depth=1
	v_or_b32_e32 v1, 0x1000, v1
; %bb.6745:                             ;   in Loop: Header=BB0_7 Depth=1
	s_or_b32 exec_lo, exec_lo, vcc_lo
.LBB0_6746:                             ;   in Loop: Header=BB0_7 Depth=1
	s_delay_alu instid0(VALU_DEP_1)
	v_readlane_b32 vcc_lo, v18, 4
	s_and_not1_saveexec_b32 vcc_lo, vcc_lo
; %bb.6747:                             ;   in Loop: Header=BB0_7 Depth=1
	v_or_b32_e32 v1, 0x1400, v1
; %bb.6748:                             ;   in Loop: Header=BB0_7 Depth=1
	s_or_b32 exec_lo, exec_lo, vcc_lo
.LBB0_6749:                             ;   in Loop: Header=BB0_7 Depth=1
	s_delay_alu instid0(VALU_DEP_1)
	v_readlane_b32 vcc_lo, v18, 3
	s_and_not1_saveexec_b32 vcc_lo, vcc_lo
; %bb.6750:                             ;   in Loop: Header=BB0_7 Depth=1
	v_or_b32_e32 v1, 0x1800, v1
; %bb.6751:                             ;   in Loop: Header=BB0_7 Depth=1
	s_or_b32 exec_lo, exec_lo, vcc_lo
.LBB0_6752:                             ;   in Loop: Header=BB0_7 Depth=1
	s_delay_alu instid0(VALU_DEP_1)
	v_readlane_b32 vcc_lo, v18, 2
	s_and_not1_saveexec_b32 vcc_lo, vcc_lo
; %bb.6753:                             ;   in Loop: Header=BB0_7 Depth=1
	v_or_b32_e32 v1, 0x1c00, v1
; %bb.6754:                             ;   in Loop: Header=BB0_7 Depth=1
	s_or_b32 exec_lo, exec_lo, vcc_lo
.LBB0_6755:                             ;   in Loop: Header=BB0_7 Depth=1
	s_delay_alu instid0(VALU_DEP_1)
	v_readlane_b32 vcc_lo, v18, 1
	s_and_not1_saveexec_b32 vcc_lo, vcc_lo
; %bb.6756:                             ;   in Loop: Header=BB0_7 Depth=1
	v_or_b32_e32 v1, 0x2000, v1
; %bb.6757:                             ;   in Loop: Header=BB0_7 Depth=1
	s_or_b32 exec_lo, exec_lo, vcc_lo
.LBB0_6758:                             ;   in Loop: Header=BB0_7 Depth=1
	s_delay_alu instid0(VALU_DEP_1)
	v_readlane_b32 vcc_lo, v18, 0
	s_and_not1_saveexec_b32 vcc_lo, vcc_lo
; %bb.6759:                             ;   in Loop: Header=BB0_7 Depth=1
	v_or_b32_e32 v1, 0x2400, v1
; %bb.6760:                             ;   in Loop: Header=BB0_7 Depth=1
	s_or_b32 exec_lo, exec_lo, vcc_lo
.LBB0_6761:                             ;   in Loop: Header=BB0_7 Depth=1
	s_and_not1_saveexec_b32 s104, s104
; %bb.6762:                             ;   in Loop: Header=BB0_7 Depth=1
	s_delay_alu instid0(VALU_DEP_1)
	v_or_b32_e32 v1, 0x2800, v1
; %bb.6763:                             ;   in Loop: Header=BB0_7 Depth=1
	s_or_b32 exec_lo, exec_lo, s104
.LBB0_6764:                             ;   in Loop: Header=BB0_7 Depth=1
	s_and_not1_saveexec_b32 s101, s101
; %bb.6765:                             ;   in Loop: Header=BB0_7 Depth=1
	s_delay_alu instid0(VALU_DEP_1)
	v_or_b32_e32 v1, 0x2c00, v1
; %bb.6766:                             ;   in Loop: Header=BB0_7 Depth=1
	s_or_b32 exec_lo, exec_lo, s101
.LBB0_6767:                             ;   in Loop: Header=BB0_7 Depth=1
	s_and_not1_saveexec_b32 s100, s100
; %bb.6768:                             ;   in Loop: Header=BB0_7 Depth=1
	s_delay_alu instid0(VALU_DEP_1)
	v_or_b32_e32 v1, 0x3000, v1
; %bb.6769:                             ;   in Loop: Header=BB0_7 Depth=1
	s_or_b32 exec_lo, exec_lo, s100
.LBB0_6770:                             ;   in Loop: Header=BB0_7 Depth=1
	s_and_not1_saveexec_b32 s99, s99
; %bb.6771:                             ;   in Loop: Header=BB0_7 Depth=1
	s_delay_alu instid0(VALU_DEP_1)
	v_or_b32_e32 v1, 0x3400, v1
; %bb.6772:                             ;   in Loop: Header=BB0_7 Depth=1
	s_or_b32 exec_lo, exec_lo, s99
.LBB0_6773:                             ;   in Loop: Header=BB0_7 Depth=1
	s_and_not1_saveexec_b32 s98, s98
; %bb.6774:                             ;   in Loop: Header=BB0_7 Depth=1
	s_delay_alu instid0(VALU_DEP_1)
	v_or_b32_e32 v1, 0x3800, v1
; %bb.6775:                             ;   in Loop: Header=BB0_7 Depth=1
	s_or_b32 exec_lo, exec_lo, s98
.LBB0_6776:                             ;   in Loop: Header=BB0_7 Depth=1
	s_and_not1_saveexec_b32 s97, s97
; %bb.6777:                             ;   in Loop: Header=BB0_7 Depth=1
	s_delay_alu instid0(VALU_DEP_1)
	v_or_b32_e32 v1, 0x3c00, v1
; %bb.6778:                             ;   in Loop: Header=BB0_7 Depth=1
	s_or_b32 exec_lo, exec_lo, s97
.LBB0_6779:                             ;   in Loop: Header=BB0_7 Depth=1
	s_and_not1_saveexec_b32 s96, s96
; %bb.6780:                             ;   in Loop: Header=BB0_7 Depth=1
	s_delay_alu instid0(VALU_DEP_1)
	v_or_b32_e32 v1, 0x4000, v1
; %bb.6781:                             ;   in Loop: Header=BB0_7 Depth=1
	s_or_b32 exec_lo, exec_lo, s96
.LBB0_6782:                             ;   in Loop: Header=BB0_7 Depth=1
	s_and_not1_saveexec_b32 s95, s95
; %bb.6783:                             ;   in Loop: Header=BB0_7 Depth=1
	s_delay_alu instid0(VALU_DEP_1)
	v_or_b32_e32 v1, 0x4400, v1
; %bb.6784:                             ;   in Loop: Header=BB0_7 Depth=1
	s_or_b32 exec_lo, exec_lo, s95
.LBB0_6785:                             ;   in Loop: Header=BB0_7 Depth=1
	s_and_not1_saveexec_b32 s94, s94
; %bb.6786:                             ;   in Loop: Header=BB0_7 Depth=1
	s_delay_alu instid0(VALU_DEP_1)
	v_or_b32_e32 v1, 0x4800, v1
; %bb.6787:                             ;   in Loop: Header=BB0_7 Depth=1
	s_or_b32 exec_lo, exec_lo, s94
.LBB0_6788:                             ;   in Loop: Header=BB0_7 Depth=1
	s_and_not1_saveexec_b32 s93, s93
; %bb.6789:                             ;   in Loop: Header=BB0_7 Depth=1
	s_delay_alu instid0(VALU_DEP_1)
	v_or_b32_e32 v1, 0x4c00, v1
; %bb.6790:                             ;   in Loop: Header=BB0_7 Depth=1
	s_or_b32 exec_lo, exec_lo, s93
.LBB0_6791:                             ;   in Loop: Header=BB0_7 Depth=1
	s_and_not1_saveexec_b32 s92, s92
; %bb.6792:                             ;   in Loop: Header=BB0_7 Depth=1
	s_delay_alu instid0(VALU_DEP_1)
	v_or_b32_e32 v1, 0x5000, v1
; %bb.6793:                             ;   in Loop: Header=BB0_7 Depth=1
	s_or_b32 exec_lo, exec_lo, s92
.LBB0_6794:                             ;   in Loop: Header=BB0_7 Depth=1
	s_and_not1_saveexec_b32 s91, s91
; %bb.6795:                             ;   in Loop: Header=BB0_7 Depth=1
	s_delay_alu instid0(VALU_DEP_1)
	v_or_b32_e32 v1, 0x5400, v1
; %bb.6796:                             ;   in Loop: Header=BB0_7 Depth=1
	s_or_b32 exec_lo, exec_lo, s91
.LBB0_6797:                             ;   in Loop: Header=BB0_7 Depth=1
	s_and_not1_saveexec_b32 s90, s90
; %bb.6798:                             ;   in Loop: Header=BB0_7 Depth=1
	s_delay_alu instid0(VALU_DEP_1)
	v_or_b32_e32 v1, 0x5800, v1
; %bb.6799:                             ;   in Loop: Header=BB0_7 Depth=1
	s_or_b32 exec_lo, exec_lo, s90
.LBB0_6800:                             ;   in Loop: Header=BB0_7 Depth=1
	s_and_not1_saveexec_b32 s89, s89
; %bb.6801:                             ;   in Loop: Header=BB0_7 Depth=1
	s_delay_alu instid0(VALU_DEP_1)
	v_or_b32_e32 v1, 0x5c00, v1
; %bb.6802:                             ;   in Loop: Header=BB0_7 Depth=1
	s_or_b32 exec_lo, exec_lo, s89
.LBB0_6803:                             ;   in Loop: Header=BB0_7 Depth=1
	s_and_not1_saveexec_b32 s88, s88
; %bb.6804:                             ;   in Loop: Header=BB0_7 Depth=1
	s_delay_alu instid0(VALU_DEP_1)
	v_or_b32_e32 v1, 0x6000, v1
; %bb.6805:                             ;   in Loop: Header=BB0_7 Depth=1
	s_or_b32 exec_lo, exec_lo, s88
.LBB0_6806:                             ;   in Loop: Header=BB0_7 Depth=1
	s_and_not1_saveexec_b32 s87, s87
; %bb.6807:                             ;   in Loop: Header=BB0_7 Depth=1
	s_delay_alu instid0(VALU_DEP_1)
	v_or_b32_e32 v1, 0x6400, v1
; %bb.6808:                             ;   in Loop: Header=BB0_7 Depth=1
	s_or_b32 exec_lo, exec_lo, s87
.LBB0_6809:                             ;   in Loop: Header=BB0_7 Depth=1
	s_and_not1_saveexec_b32 s86, s86
; %bb.6810:                             ;   in Loop: Header=BB0_7 Depth=1
	s_delay_alu instid0(VALU_DEP_1)
	v_or_b32_e32 v1, 0x6800, v1
; %bb.6811:                             ;   in Loop: Header=BB0_7 Depth=1
	s_or_b32 exec_lo, exec_lo, s86
.LBB0_6812:                             ;   in Loop: Header=BB0_7 Depth=1
	s_and_not1_saveexec_b32 s85, s85
; %bb.6813:                             ;   in Loop: Header=BB0_7 Depth=1
	s_delay_alu instid0(VALU_DEP_1)
	v_or_b32_e32 v1, 0x6c00, v1
; %bb.6814:                             ;   in Loop: Header=BB0_7 Depth=1
	s_or_b32 exec_lo, exec_lo, s85
.LBB0_6815:                             ;   in Loop: Header=BB0_7 Depth=1
	s_and_not1_saveexec_b32 s84, s84
; %bb.6816:                             ;   in Loop: Header=BB0_7 Depth=1
	s_delay_alu instid0(VALU_DEP_1)
	v_or_b32_e32 v1, 0x7000, v1
; %bb.6817:                             ;   in Loop: Header=BB0_7 Depth=1
	s_or_b32 exec_lo, exec_lo, s84
.LBB0_6818:                             ;   in Loop: Header=BB0_7 Depth=1
	s_and_not1_saveexec_b32 s83, s83
; %bb.6819:                             ;   in Loop: Header=BB0_7 Depth=1
	s_delay_alu instid0(VALU_DEP_1)
	v_or_b32_e32 v1, 0x7400, v1
; %bb.6820:                             ;   in Loop: Header=BB0_7 Depth=1
	s_or_b32 exec_lo, exec_lo, s83
.LBB0_6821:                             ;   in Loop: Header=BB0_7 Depth=1
	s_and_not1_saveexec_b32 s82, s82
; %bb.6822:                             ;   in Loop: Header=BB0_7 Depth=1
	s_delay_alu instid0(VALU_DEP_1)
	v_or_b32_e32 v1, 0x7800, v1
; %bb.6823:                             ;   in Loop: Header=BB0_7 Depth=1
	s_or_b32 exec_lo, exec_lo, s82
.LBB0_6824:                             ;   in Loop: Header=BB0_7 Depth=1
	s_and_not1_saveexec_b32 s81, s81
; %bb.6825:                             ;   in Loop: Header=BB0_7 Depth=1
	s_delay_alu instid0(VALU_DEP_1)
	v_or_b32_e32 v1, 0x7c00, v1
; %bb.6826:                             ;   in Loop: Header=BB0_7 Depth=1
	s_or_b32 exec_lo, exec_lo, s81
.LBB0_6827:                             ;   in Loop: Header=BB0_7 Depth=1
	s_delay_alu instid0(SALU_CYCLE_1) | instskip(SKIP_1) | instid1(SALU_CYCLE_1)
	s_or_b32 exec_lo, exec_lo, s80
	s_or_b32 s80, s33, 62
	v_cmp_ge_u32_e32 vcc_lo, s80, v0
	s_and_saveexec_b32 s80, vcc_lo
	s_delay_alu instid0(SALU_CYCLE_1)
	s_xor_b32 s80, exec_lo, s80
; %bb.6828:                             ;   in Loop: Header=BB0_7 Depth=1
	v_add_nc_u32_e32 v1, 0x7c0000, v1
; %bb.6829:                             ;   in Loop: Header=BB0_7 Depth=1
	s_and_not1_saveexec_b32 s80, s80
	s_cbranch_execz .LBB0_6953
; %bb.6830:                             ;   in Loop: Header=BB0_7 Depth=1
	s_add_co_i32 s81, s62, 0
	s_delay_alu instid0(SALU_CYCLE_1)
	v_mov_b32_e32 v8, s81
	s_mov_b32 s81, exec_lo
	ds_load_2addr_b64 v[12:15], v8 offset0:186 offset1:187
	ds_load_b64 v[16:17], v8 offset:1504
	s_wait_dscnt 0x1
	v_mul_f64_e32 v[8:9], v[4:5], v[14:15]
	s_delay_alu instid0(VALU_DEP_1) | instskip(SKIP_1) | instid1(VALU_DEP_1)
	v_fmac_f64_e32 v[8:9], v[2:3], v[12:13]
	s_wait_dscnt 0x0
	v_fmac_f64_e32 v[8:9], v[6:7], v[16:17]
	s_delay_alu instid0(VALU_DEP_1)
	v_cmpx_ngt_f64_e32 s[60:61], v[8:9]
	s_xor_b32 s81, exec_lo, s81
	s_cbranch_execz .LBB0_6950
; %bb.6831:                             ;   in Loop: Header=BB0_7 Depth=1
	s_mov_b32 s82, exec_lo
	v_cmpx_ngt_f64_e32 s[66:67], v[8:9]
	s_xor_b32 s82, exec_lo, s82
	s_cbranch_execz .LBB0_6947
; %bb.6832:                             ;   in Loop: Header=BB0_7 Depth=1
	s_mov_b32 s83, exec_lo
	;; [unrolled: 5-line block ×21, first 2 shown]
	v_cmpx_ngt_f64_e32 s[18:19], v[8:9]
	s_xor_b32 s104, exec_lo, s104
	s_cbranch_execz .LBB0_6887
; %bb.6852:                             ;   in Loop: Header=BB0_7 Depth=1
	s_mov_b32 vcc_hi, exec_lo
	v_cmpx_ngt_f64_e32 s[16:17], v[8:9]
	s_xor_b32 vcc_hi, exec_lo, vcc_hi
	s_delay_alu instid0(SALU_CYCLE_1)
	v_writelane_b32 v18, vcc_hi, 0
	s_cbranch_execz .LBB0_6884
; %bb.6853:                             ;   in Loop: Header=BB0_7 Depth=1
	s_mov_b32 vcc_hi, exec_lo
	v_cmpx_ngt_f64_e32 s[50:51], v[8:9]
	s_xor_b32 vcc_hi, exec_lo, vcc_hi
	s_delay_alu instid0(SALU_CYCLE_1)
	v_writelane_b32 v18, vcc_hi, 1
	;; [unrolled: 7-line block ×8, first 2 shown]
	s_cbranch_execz .LBB0_6863
; %bb.6860:                             ;   in Loop: Header=BB0_7 Depth=1
	s_mov_b32 vcc_lo, exec_lo
	v_cmpx_gt_f64_e32 s[36:37], v[8:9]
; %bb.6861:                             ;   in Loop: Header=BB0_7 Depth=1
	v_add_nc_u32_e32 v1, 0x40000, v1
; %bb.6862:                             ;   in Loop: Header=BB0_7 Depth=1
	s_or_b32 exec_lo, exec_lo, vcc_lo
.LBB0_6863:                             ;   in Loop: Header=BB0_7 Depth=1
	s_delay_alu instid0(VALU_DEP_1)
	v_readlane_b32 vcc_lo, v18, 8
	s_and_not1_saveexec_b32 vcc_lo, vcc_lo
; %bb.6864:                             ;   in Loop: Header=BB0_7 Depth=1
	v_add_nc_u32_e32 v1, 0x80000, v1
; %bb.6865:                             ;   in Loop: Header=BB0_7 Depth=1
	s_or_b32 exec_lo, exec_lo, vcc_lo
.LBB0_6866:                             ;   in Loop: Header=BB0_7 Depth=1
	s_delay_alu instid0(VALU_DEP_1)
	v_readlane_b32 vcc_lo, v18, 6
	s_and_not1_saveexec_b32 vcc_lo, vcc_lo
; %bb.6867:                             ;   in Loop: Header=BB0_7 Depth=1
	v_add_nc_u32_e32 v1, 0xc0000, v1
; %bb.6868:                             ;   in Loop: Header=BB0_7 Depth=1
	s_or_b32 exec_lo, exec_lo, vcc_lo
.LBB0_6869:                             ;   in Loop: Header=BB0_7 Depth=1
	s_delay_alu instid0(VALU_DEP_1)
	v_readlane_b32 vcc_lo, v18, 5
	s_and_not1_saveexec_b32 vcc_lo, vcc_lo
; %bb.6870:                             ;   in Loop: Header=BB0_7 Depth=1
	v_add_nc_u32_e32 v1, 0x100000, v1
; %bb.6871:                             ;   in Loop: Header=BB0_7 Depth=1
	s_or_b32 exec_lo, exec_lo, vcc_lo
.LBB0_6872:                             ;   in Loop: Header=BB0_7 Depth=1
	s_delay_alu instid0(VALU_DEP_1)
	v_readlane_b32 vcc_lo, v18, 4
	s_and_not1_saveexec_b32 vcc_lo, vcc_lo
; %bb.6873:                             ;   in Loop: Header=BB0_7 Depth=1
	v_add_nc_u32_e32 v1, 0x140000, v1
; %bb.6874:                             ;   in Loop: Header=BB0_7 Depth=1
	s_or_b32 exec_lo, exec_lo, vcc_lo
.LBB0_6875:                             ;   in Loop: Header=BB0_7 Depth=1
	s_delay_alu instid0(VALU_DEP_1)
	v_readlane_b32 vcc_lo, v18, 3
	s_and_not1_saveexec_b32 vcc_lo, vcc_lo
; %bb.6876:                             ;   in Loop: Header=BB0_7 Depth=1
	v_add_nc_u32_e32 v1, 0x180000, v1
; %bb.6877:                             ;   in Loop: Header=BB0_7 Depth=1
	s_or_b32 exec_lo, exec_lo, vcc_lo
.LBB0_6878:                             ;   in Loop: Header=BB0_7 Depth=1
	s_delay_alu instid0(VALU_DEP_1)
	v_readlane_b32 vcc_lo, v18, 2
	s_and_not1_saveexec_b32 vcc_lo, vcc_lo
; %bb.6879:                             ;   in Loop: Header=BB0_7 Depth=1
	v_add_nc_u32_e32 v1, 0x1c0000, v1
; %bb.6880:                             ;   in Loop: Header=BB0_7 Depth=1
	s_or_b32 exec_lo, exec_lo, vcc_lo
.LBB0_6881:                             ;   in Loop: Header=BB0_7 Depth=1
	s_delay_alu instid0(VALU_DEP_1)
	v_readlane_b32 vcc_lo, v18, 1
	s_and_not1_saveexec_b32 vcc_lo, vcc_lo
; %bb.6882:                             ;   in Loop: Header=BB0_7 Depth=1
	v_add_nc_u32_e32 v1, 0x200000, v1
; %bb.6883:                             ;   in Loop: Header=BB0_7 Depth=1
	s_or_b32 exec_lo, exec_lo, vcc_lo
.LBB0_6884:                             ;   in Loop: Header=BB0_7 Depth=1
	s_delay_alu instid0(VALU_DEP_1)
	v_readlane_b32 vcc_lo, v18, 0
	s_and_not1_saveexec_b32 vcc_lo, vcc_lo
; %bb.6885:                             ;   in Loop: Header=BB0_7 Depth=1
	v_add_nc_u32_e32 v1, 0x240000, v1
; %bb.6886:                             ;   in Loop: Header=BB0_7 Depth=1
	s_or_b32 exec_lo, exec_lo, vcc_lo
.LBB0_6887:                             ;   in Loop: Header=BB0_7 Depth=1
	s_and_not1_saveexec_b32 s104, s104
; %bb.6888:                             ;   in Loop: Header=BB0_7 Depth=1
	s_delay_alu instid0(VALU_DEP_1)
	v_add_nc_u32_e32 v1, 0x280000, v1
; %bb.6889:                             ;   in Loop: Header=BB0_7 Depth=1
	s_or_b32 exec_lo, exec_lo, s104
.LBB0_6890:                             ;   in Loop: Header=BB0_7 Depth=1
	s_and_not1_saveexec_b32 s101, s101
; %bb.6891:                             ;   in Loop: Header=BB0_7 Depth=1
	s_delay_alu instid0(VALU_DEP_1)
	v_add_nc_u32_e32 v1, 0x2c0000, v1
; %bb.6892:                             ;   in Loop: Header=BB0_7 Depth=1
	s_or_b32 exec_lo, exec_lo, s101
.LBB0_6893:                             ;   in Loop: Header=BB0_7 Depth=1
	s_and_not1_saveexec_b32 s100, s100
; %bb.6894:                             ;   in Loop: Header=BB0_7 Depth=1
	s_delay_alu instid0(VALU_DEP_1)
	v_add_nc_u32_e32 v1, 0x300000, v1
; %bb.6895:                             ;   in Loop: Header=BB0_7 Depth=1
	s_or_b32 exec_lo, exec_lo, s100
.LBB0_6896:                             ;   in Loop: Header=BB0_7 Depth=1
	s_and_not1_saveexec_b32 s99, s99
; %bb.6897:                             ;   in Loop: Header=BB0_7 Depth=1
	s_delay_alu instid0(VALU_DEP_1)
	v_add_nc_u32_e32 v1, 0x340000, v1
; %bb.6898:                             ;   in Loop: Header=BB0_7 Depth=1
	s_or_b32 exec_lo, exec_lo, s99
.LBB0_6899:                             ;   in Loop: Header=BB0_7 Depth=1
	s_and_not1_saveexec_b32 s98, s98
; %bb.6900:                             ;   in Loop: Header=BB0_7 Depth=1
	s_delay_alu instid0(VALU_DEP_1)
	v_add_nc_u32_e32 v1, 0x380000, v1
; %bb.6901:                             ;   in Loop: Header=BB0_7 Depth=1
	s_or_b32 exec_lo, exec_lo, s98
.LBB0_6902:                             ;   in Loop: Header=BB0_7 Depth=1
	s_and_not1_saveexec_b32 s97, s97
; %bb.6903:                             ;   in Loop: Header=BB0_7 Depth=1
	s_delay_alu instid0(VALU_DEP_1)
	v_add_nc_u32_e32 v1, 0x3c0000, v1
; %bb.6904:                             ;   in Loop: Header=BB0_7 Depth=1
	s_or_b32 exec_lo, exec_lo, s97
.LBB0_6905:                             ;   in Loop: Header=BB0_7 Depth=1
	s_and_not1_saveexec_b32 s96, s96
; %bb.6906:                             ;   in Loop: Header=BB0_7 Depth=1
	s_delay_alu instid0(VALU_DEP_1)
	v_add_nc_u32_e32 v1, 0x400000, v1
; %bb.6907:                             ;   in Loop: Header=BB0_7 Depth=1
	s_or_b32 exec_lo, exec_lo, s96
.LBB0_6908:                             ;   in Loop: Header=BB0_7 Depth=1
	s_and_not1_saveexec_b32 s95, s95
; %bb.6909:                             ;   in Loop: Header=BB0_7 Depth=1
	s_delay_alu instid0(VALU_DEP_1)
	v_add_nc_u32_e32 v1, 0x440000, v1
; %bb.6910:                             ;   in Loop: Header=BB0_7 Depth=1
	s_or_b32 exec_lo, exec_lo, s95
.LBB0_6911:                             ;   in Loop: Header=BB0_7 Depth=1
	s_and_not1_saveexec_b32 s94, s94
; %bb.6912:                             ;   in Loop: Header=BB0_7 Depth=1
	s_delay_alu instid0(VALU_DEP_1)
	v_add_nc_u32_e32 v1, 0x480000, v1
; %bb.6913:                             ;   in Loop: Header=BB0_7 Depth=1
	s_or_b32 exec_lo, exec_lo, s94
.LBB0_6914:                             ;   in Loop: Header=BB0_7 Depth=1
	s_and_not1_saveexec_b32 s93, s93
; %bb.6915:                             ;   in Loop: Header=BB0_7 Depth=1
	s_delay_alu instid0(VALU_DEP_1)
	v_add_nc_u32_e32 v1, 0x4c0000, v1
; %bb.6916:                             ;   in Loop: Header=BB0_7 Depth=1
	s_or_b32 exec_lo, exec_lo, s93
.LBB0_6917:                             ;   in Loop: Header=BB0_7 Depth=1
	s_and_not1_saveexec_b32 s92, s92
; %bb.6918:                             ;   in Loop: Header=BB0_7 Depth=1
	s_delay_alu instid0(VALU_DEP_1)
	v_add_nc_u32_e32 v1, 0x500000, v1
; %bb.6919:                             ;   in Loop: Header=BB0_7 Depth=1
	s_or_b32 exec_lo, exec_lo, s92
.LBB0_6920:                             ;   in Loop: Header=BB0_7 Depth=1
	s_and_not1_saveexec_b32 s91, s91
; %bb.6921:                             ;   in Loop: Header=BB0_7 Depth=1
	s_delay_alu instid0(VALU_DEP_1)
	v_add_nc_u32_e32 v1, 0x540000, v1
; %bb.6922:                             ;   in Loop: Header=BB0_7 Depth=1
	s_or_b32 exec_lo, exec_lo, s91
.LBB0_6923:                             ;   in Loop: Header=BB0_7 Depth=1
	s_and_not1_saveexec_b32 s90, s90
; %bb.6924:                             ;   in Loop: Header=BB0_7 Depth=1
	s_delay_alu instid0(VALU_DEP_1)
	v_add_nc_u32_e32 v1, 0x580000, v1
; %bb.6925:                             ;   in Loop: Header=BB0_7 Depth=1
	s_or_b32 exec_lo, exec_lo, s90
.LBB0_6926:                             ;   in Loop: Header=BB0_7 Depth=1
	s_and_not1_saveexec_b32 s89, s89
; %bb.6927:                             ;   in Loop: Header=BB0_7 Depth=1
	s_delay_alu instid0(VALU_DEP_1)
	v_add_nc_u32_e32 v1, 0x5c0000, v1
; %bb.6928:                             ;   in Loop: Header=BB0_7 Depth=1
	s_or_b32 exec_lo, exec_lo, s89
.LBB0_6929:                             ;   in Loop: Header=BB0_7 Depth=1
	s_and_not1_saveexec_b32 s88, s88
; %bb.6930:                             ;   in Loop: Header=BB0_7 Depth=1
	s_delay_alu instid0(VALU_DEP_1)
	v_add_nc_u32_e32 v1, 0x600000, v1
; %bb.6931:                             ;   in Loop: Header=BB0_7 Depth=1
	s_or_b32 exec_lo, exec_lo, s88
.LBB0_6932:                             ;   in Loop: Header=BB0_7 Depth=1
	s_and_not1_saveexec_b32 s87, s87
; %bb.6933:                             ;   in Loop: Header=BB0_7 Depth=1
	s_delay_alu instid0(VALU_DEP_1)
	v_add_nc_u32_e32 v1, 0x640000, v1
; %bb.6934:                             ;   in Loop: Header=BB0_7 Depth=1
	s_or_b32 exec_lo, exec_lo, s87
.LBB0_6935:                             ;   in Loop: Header=BB0_7 Depth=1
	s_and_not1_saveexec_b32 s86, s86
; %bb.6936:                             ;   in Loop: Header=BB0_7 Depth=1
	s_delay_alu instid0(VALU_DEP_1)
	v_add_nc_u32_e32 v1, 0x680000, v1
; %bb.6937:                             ;   in Loop: Header=BB0_7 Depth=1
	s_or_b32 exec_lo, exec_lo, s86
.LBB0_6938:                             ;   in Loop: Header=BB0_7 Depth=1
	s_and_not1_saveexec_b32 s85, s85
; %bb.6939:                             ;   in Loop: Header=BB0_7 Depth=1
	s_delay_alu instid0(VALU_DEP_1)
	v_add_nc_u32_e32 v1, 0x6c0000, v1
; %bb.6940:                             ;   in Loop: Header=BB0_7 Depth=1
	s_or_b32 exec_lo, exec_lo, s85
.LBB0_6941:                             ;   in Loop: Header=BB0_7 Depth=1
	s_and_not1_saveexec_b32 s84, s84
; %bb.6942:                             ;   in Loop: Header=BB0_7 Depth=1
	s_delay_alu instid0(VALU_DEP_1)
	v_add_nc_u32_e32 v1, 0x700000, v1
; %bb.6943:                             ;   in Loop: Header=BB0_7 Depth=1
	s_or_b32 exec_lo, exec_lo, s84
.LBB0_6944:                             ;   in Loop: Header=BB0_7 Depth=1
	s_and_not1_saveexec_b32 s83, s83
; %bb.6945:                             ;   in Loop: Header=BB0_7 Depth=1
	s_delay_alu instid0(VALU_DEP_1)
	v_add_nc_u32_e32 v1, 0x740000, v1
; %bb.6946:                             ;   in Loop: Header=BB0_7 Depth=1
	s_or_b32 exec_lo, exec_lo, s83
.LBB0_6947:                             ;   in Loop: Header=BB0_7 Depth=1
	s_and_not1_saveexec_b32 s82, s82
; %bb.6948:                             ;   in Loop: Header=BB0_7 Depth=1
	s_delay_alu instid0(VALU_DEP_1)
	v_add_nc_u32_e32 v1, 0x780000, v1
; %bb.6949:                             ;   in Loop: Header=BB0_7 Depth=1
	s_or_b32 exec_lo, exec_lo, s82
.LBB0_6950:                             ;   in Loop: Header=BB0_7 Depth=1
	s_and_not1_saveexec_b32 s81, s81
; %bb.6951:                             ;   in Loop: Header=BB0_7 Depth=1
	s_delay_alu instid0(VALU_DEP_1)
	v_add_nc_u32_e32 v1, 0x7c0000, v1
; %bb.6952:                             ;   in Loop: Header=BB0_7 Depth=1
	s_or_b32 exec_lo, exec_lo, s81
.LBB0_6953:                             ;   in Loop: Header=BB0_7 Depth=1
	s_delay_alu instid0(SALU_CYCLE_1) | instskip(SKIP_1) | instid1(SALU_CYCLE_1)
	s_or_b32 exec_lo, exec_lo, s80
	s_or_b32 s80, s33, 63
	v_cmp_ge_u32_e32 vcc_lo, s80, v0
	s_and_saveexec_b32 s80, vcc_lo
	s_delay_alu instid0(SALU_CYCLE_1)
	s_xor_b32 s80, exec_lo, s80
; %bb.6954:                             ;   in Loop: Header=BB0_7 Depth=1
	v_add_nc_u32_e32 v1, 0x7c000000, v1
; %bb.6955:                             ;   in Loop: Header=BB0_7 Depth=1
	s_and_not1_saveexec_b32 s80, s80
	s_cbranch_execz .LBB0_6
; %bb.6956:                             ;   in Loop: Header=BB0_7 Depth=1
	s_add_co_i32 s62, s62, 0
	s_delay_alu instid0(SALU_CYCLE_1)
	v_mov_b32_e32 v8, s62
	s_mov_b32 s62, exec_lo
	ds_load_2addr_b64 v[12:15], v8 offset0:189 offset1:190
	ds_load_b64 v[16:17], v8 offset:1528
	s_wait_dscnt 0x1
	v_mul_f64_e32 v[8:9], v[4:5], v[14:15]
	s_delay_alu instid0(VALU_DEP_1) | instskip(SKIP_1) | instid1(VALU_DEP_1)
	v_fmac_f64_e32 v[8:9], v[2:3], v[12:13]
	s_wait_dscnt 0x0
	v_fmac_f64_e32 v[8:9], v[6:7], v[16:17]
	s_delay_alu instid0(VALU_DEP_1)
	v_cmpx_ngt_f64_e32 s[60:61], v[8:9]
	s_xor_b32 s62, exec_lo, s62
	s_cbranch_execz .LBB0_7076
; %bb.6957:                             ;   in Loop: Header=BB0_7 Depth=1
	s_mov_b32 s81, exec_lo
	v_cmpx_ngt_f64_e32 s[66:67], v[8:9]
	s_xor_b32 s81, exec_lo, s81
	s_cbranch_execz .LBB0_7073
; %bb.6958:                             ;   in Loop: Header=BB0_7 Depth=1
	s_mov_b32 s82, exec_lo
	;; [unrolled: 5-line block ×22, first 2 shown]
	v_cmpx_ngt_f64_e32 s[16:17], v[8:9]
	s_xor_b32 s104, exec_lo, s104
	s_cbranch_execz .LBB0_7010
; %bb.6979:                             ;   in Loop: Header=BB0_7 Depth=1
	s_mov_b32 vcc_hi, exec_lo
	v_cmpx_ngt_f64_e32 s[50:51], v[8:9]
	s_xor_b32 vcc_hi, exec_lo, vcc_hi
	s_delay_alu instid0(SALU_CYCLE_1)
	v_writelane_b32 v18, vcc_hi, 0
	s_cbranch_execz .LBB0_7007
; %bb.6980:                             ;   in Loop: Header=BB0_7 Depth=1
	s_mov_b32 vcc_hi, exec_lo
	v_cmpx_ngt_f64_e32 s[48:49], v[8:9]
	s_xor_b32 vcc_hi, exec_lo, vcc_hi
	s_delay_alu instid0(SALU_CYCLE_1)
	v_writelane_b32 v18, vcc_hi, 1
	;; [unrolled: 7-line block ×7, first 2 shown]
	s_cbranch_execz .LBB0_6989
; %bb.6986:                             ;   in Loop: Header=BB0_7 Depth=1
	s_mov_b32 vcc_lo, exec_lo
	v_cmpx_gt_f64_e32 s[36:37], v[8:9]
; %bb.6987:                             ;   in Loop: Header=BB0_7 Depth=1
	v_add_nc_u32_e32 v1, 0x4000000, v1
; %bb.6988:                             ;   in Loop: Header=BB0_7 Depth=1
	s_or_b32 exec_lo, exec_lo, vcc_lo
.LBB0_6989:                             ;   in Loop: Header=BB0_7 Depth=1
	s_delay_alu instid0(VALU_DEP_1)
	v_readlane_b32 vcc_lo, v18, 6
	s_and_not1_saveexec_b32 vcc_lo, vcc_lo
; %bb.6990:                             ;   in Loop: Header=BB0_7 Depth=1
	v_add_nc_u32_e32 v1, 0x8000000, v1
; %bb.6991:                             ;   in Loop: Header=BB0_7 Depth=1
	s_or_b32 exec_lo, exec_lo, vcc_lo
.LBB0_6992:                             ;   in Loop: Header=BB0_7 Depth=1
	s_delay_alu instid0(VALU_DEP_1)
	v_readlane_b32 vcc_lo, v18, 5
	s_and_not1_saveexec_b32 vcc_lo, vcc_lo
; %bb.6993:                             ;   in Loop: Header=BB0_7 Depth=1
	v_add_nc_u32_e32 v1, 0xc000000, v1
; %bb.6994:                             ;   in Loop: Header=BB0_7 Depth=1
	s_or_b32 exec_lo, exec_lo, vcc_lo
.LBB0_6995:                             ;   in Loop: Header=BB0_7 Depth=1
	s_delay_alu instid0(VALU_DEP_1)
	v_readlane_b32 vcc_lo, v18, 4
	s_and_not1_saveexec_b32 vcc_lo, vcc_lo
; %bb.6996:                             ;   in Loop: Header=BB0_7 Depth=1
	v_add_nc_u32_e32 v1, 0x10000000, v1
; %bb.6997:                             ;   in Loop: Header=BB0_7 Depth=1
	s_or_b32 exec_lo, exec_lo, vcc_lo
.LBB0_6998:                             ;   in Loop: Header=BB0_7 Depth=1
	s_delay_alu instid0(VALU_DEP_1)
	v_readlane_b32 vcc_lo, v18, 3
	s_and_not1_saveexec_b32 vcc_lo, vcc_lo
; %bb.6999:                             ;   in Loop: Header=BB0_7 Depth=1
	v_add_nc_u32_e32 v1, 0x14000000, v1
; %bb.7000:                             ;   in Loop: Header=BB0_7 Depth=1
	s_or_b32 exec_lo, exec_lo, vcc_lo
.LBB0_7001:                             ;   in Loop: Header=BB0_7 Depth=1
	s_delay_alu instid0(VALU_DEP_1)
	v_readlane_b32 vcc_lo, v18, 2
	s_and_not1_saveexec_b32 vcc_lo, vcc_lo
; %bb.7002:                             ;   in Loop: Header=BB0_7 Depth=1
	v_add_nc_u32_e32 v1, 0x18000000, v1
; %bb.7003:                             ;   in Loop: Header=BB0_7 Depth=1
	s_or_b32 exec_lo, exec_lo, vcc_lo
.LBB0_7004:                             ;   in Loop: Header=BB0_7 Depth=1
	s_delay_alu instid0(VALU_DEP_1)
	v_readlane_b32 vcc_lo, v18, 1
	s_and_not1_saveexec_b32 vcc_lo, vcc_lo
; %bb.7005:                             ;   in Loop: Header=BB0_7 Depth=1
	v_add_nc_u32_e32 v1, 0x1c000000, v1
; %bb.7006:                             ;   in Loop: Header=BB0_7 Depth=1
	s_or_b32 exec_lo, exec_lo, vcc_lo
.LBB0_7007:                             ;   in Loop: Header=BB0_7 Depth=1
	s_delay_alu instid0(VALU_DEP_1)
	v_readlane_b32 vcc_lo, v18, 0
	s_and_not1_saveexec_b32 vcc_lo, vcc_lo
; %bb.7008:                             ;   in Loop: Header=BB0_7 Depth=1
	v_add_nc_u32_e32 v1, 0x20000000, v1
; %bb.7009:                             ;   in Loop: Header=BB0_7 Depth=1
	s_or_b32 exec_lo, exec_lo, vcc_lo
.LBB0_7010:                             ;   in Loop: Header=BB0_7 Depth=1
	s_and_not1_saveexec_b32 s104, s104
; %bb.7011:                             ;   in Loop: Header=BB0_7 Depth=1
	s_delay_alu instid0(VALU_DEP_1)
	v_add_nc_u32_e32 v1, 0x24000000, v1
; %bb.7012:                             ;   in Loop: Header=BB0_7 Depth=1
	s_or_b32 exec_lo, exec_lo, s104
.LBB0_7013:                             ;   in Loop: Header=BB0_7 Depth=1
	s_and_not1_saveexec_b32 s101, s101
; %bb.7014:                             ;   in Loop: Header=BB0_7 Depth=1
	s_delay_alu instid0(VALU_DEP_1)
	v_add_nc_u32_e32 v1, 0x28000000, v1
; %bb.7015:                             ;   in Loop: Header=BB0_7 Depth=1
	s_or_b32 exec_lo, exec_lo, s101
.LBB0_7016:                             ;   in Loop: Header=BB0_7 Depth=1
	s_and_not1_saveexec_b32 s100, s100
; %bb.7017:                             ;   in Loop: Header=BB0_7 Depth=1
	s_delay_alu instid0(VALU_DEP_1)
	v_add_nc_u32_e32 v1, 0x2c000000, v1
; %bb.7018:                             ;   in Loop: Header=BB0_7 Depth=1
	s_or_b32 exec_lo, exec_lo, s100
.LBB0_7019:                             ;   in Loop: Header=BB0_7 Depth=1
	s_and_not1_saveexec_b32 s99, s99
; %bb.7020:                             ;   in Loop: Header=BB0_7 Depth=1
	s_delay_alu instid0(VALU_DEP_1)
	v_add_nc_u32_e32 v1, 0x30000000, v1
; %bb.7021:                             ;   in Loop: Header=BB0_7 Depth=1
	s_or_b32 exec_lo, exec_lo, s99
.LBB0_7022:                             ;   in Loop: Header=BB0_7 Depth=1
	s_and_not1_saveexec_b32 s98, s98
; %bb.7023:                             ;   in Loop: Header=BB0_7 Depth=1
	s_delay_alu instid0(VALU_DEP_1)
	v_add_nc_u32_e32 v1, 0x34000000, v1
; %bb.7024:                             ;   in Loop: Header=BB0_7 Depth=1
	s_or_b32 exec_lo, exec_lo, s98
.LBB0_7025:                             ;   in Loop: Header=BB0_7 Depth=1
	s_and_not1_saveexec_b32 s97, s97
; %bb.7026:                             ;   in Loop: Header=BB0_7 Depth=1
	s_delay_alu instid0(VALU_DEP_1)
	v_add_nc_u32_e32 v1, 0x38000000, v1
; %bb.7027:                             ;   in Loop: Header=BB0_7 Depth=1
	s_or_b32 exec_lo, exec_lo, s97
.LBB0_7028:                             ;   in Loop: Header=BB0_7 Depth=1
	s_and_not1_saveexec_b32 s96, s96
; %bb.7029:                             ;   in Loop: Header=BB0_7 Depth=1
	s_delay_alu instid0(VALU_DEP_1)
	v_add_nc_u32_e32 v1, 0x3c000000, v1
; %bb.7030:                             ;   in Loop: Header=BB0_7 Depth=1
	s_or_b32 exec_lo, exec_lo, s96
.LBB0_7031:                             ;   in Loop: Header=BB0_7 Depth=1
	s_and_not1_saveexec_b32 s95, s95
; %bb.7032:                             ;   in Loop: Header=BB0_7 Depth=1
	s_delay_alu instid0(VALU_DEP_1)
	v_add_nc_u32_e32 v1, 2.0, v1
; %bb.7033:                             ;   in Loop: Header=BB0_7 Depth=1
	s_or_b32 exec_lo, exec_lo, s95
.LBB0_7034:                             ;   in Loop: Header=BB0_7 Depth=1
	s_and_not1_saveexec_b32 s94, s94
; %bb.7035:                             ;   in Loop: Header=BB0_7 Depth=1
	s_delay_alu instid0(VALU_DEP_1)
	v_add_nc_u32_e32 v1, 0x44000000, v1
; %bb.7036:                             ;   in Loop: Header=BB0_7 Depth=1
	s_or_b32 exec_lo, exec_lo, s94
.LBB0_7037:                             ;   in Loop: Header=BB0_7 Depth=1
	s_and_not1_saveexec_b32 s93, s93
; %bb.7038:                             ;   in Loop: Header=BB0_7 Depth=1
	s_delay_alu instid0(VALU_DEP_1)
	v_add_nc_u32_e32 v1, 0x48000000, v1
; %bb.7039:                             ;   in Loop: Header=BB0_7 Depth=1
	s_or_b32 exec_lo, exec_lo, s93
.LBB0_7040:                             ;   in Loop: Header=BB0_7 Depth=1
	s_and_not1_saveexec_b32 s92, s92
; %bb.7041:                             ;   in Loop: Header=BB0_7 Depth=1
	s_delay_alu instid0(VALU_DEP_1)
	v_add_nc_u32_e32 v1, 0x4c000000, v1
; %bb.7042:                             ;   in Loop: Header=BB0_7 Depth=1
	s_or_b32 exec_lo, exec_lo, s92
.LBB0_7043:                             ;   in Loop: Header=BB0_7 Depth=1
	s_and_not1_saveexec_b32 s91, s91
; %bb.7044:                             ;   in Loop: Header=BB0_7 Depth=1
	s_delay_alu instid0(VALU_DEP_1)
	v_add_nc_u32_e32 v1, 0x50000000, v1
; %bb.7045:                             ;   in Loop: Header=BB0_7 Depth=1
	s_or_b32 exec_lo, exec_lo, s91
.LBB0_7046:                             ;   in Loop: Header=BB0_7 Depth=1
	s_and_not1_saveexec_b32 s90, s90
; %bb.7047:                             ;   in Loop: Header=BB0_7 Depth=1
	s_delay_alu instid0(VALU_DEP_1)
	v_add_nc_u32_e32 v1, 0x54000000, v1
; %bb.7048:                             ;   in Loop: Header=BB0_7 Depth=1
	s_or_b32 exec_lo, exec_lo, s90
.LBB0_7049:                             ;   in Loop: Header=BB0_7 Depth=1
	s_and_not1_saveexec_b32 s89, s89
; %bb.7050:                             ;   in Loop: Header=BB0_7 Depth=1
	s_delay_alu instid0(VALU_DEP_1)
	v_add_nc_u32_e32 v1, 0x58000000, v1
; %bb.7051:                             ;   in Loop: Header=BB0_7 Depth=1
	s_or_b32 exec_lo, exec_lo, s89
.LBB0_7052:                             ;   in Loop: Header=BB0_7 Depth=1
	s_and_not1_saveexec_b32 s88, s88
; %bb.7053:                             ;   in Loop: Header=BB0_7 Depth=1
	s_delay_alu instid0(VALU_DEP_1)
	v_add_nc_u32_e32 v1, 0x5c000000, v1
; %bb.7054:                             ;   in Loop: Header=BB0_7 Depth=1
	s_or_b32 exec_lo, exec_lo, s88
.LBB0_7055:                             ;   in Loop: Header=BB0_7 Depth=1
	s_and_not1_saveexec_b32 s87, s87
; %bb.7056:                             ;   in Loop: Header=BB0_7 Depth=1
	s_delay_alu instid0(VALU_DEP_1)
	v_add_nc_u32_e32 v1, 0x60000000, v1
; %bb.7057:                             ;   in Loop: Header=BB0_7 Depth=1
	s_or_b32 exec_lo, exec_lo, s87
.LBB0_7058:                             ;   in Loop: Header=BB0_7 Depth=1
	s_and_not1_saveexec_b32 s86, s86
; %bb.7059:                             ;   in Loop: Header=BB0_7 Depth=1
	s_delay_alu instid0(VALU_DEP_1)
	v_add_nc_u32_e32 v1, 0x64000000, v1
; %bb.7060:                             ;   in Loop: Header=BB0_7 Depth=1
	s_or_b32 exec_lo, exec_lo, s86
.LBB0_7061:                             ;   in Loop: Header=BB0_7 Depth=1
	s_and_not1_saveexec_b32 s85, s85
; %bb.7062:                             ;   in Loop: Header=BB0_7 Depth=1
	s_delay_alu instid0(VALU_DEP_1)
	v_add_nc_u32_e32 v1, 0x68000000, v1
; %bb.7063:                             ;   in Loop: Header=BB0_7 Depth=1
	s_or_b32 exec_lo, exec_lo, s85
.LBB0_7064:                             ;   in Loop: Header=BB0_7 Depth=1
	s_and_not1_saveexec_b32 s84, s84
; %bb.7065:                             ;   in Loop: Header=BB0_7 Depth=1
	s_delay_alu instid0(VALU_DEP_1)
	v_add_nc_u32_e32 v1, 0x6c000000, v1
; %bb.7066:                             ;   in Loop: Header=BB0_7 Depth=1
	s_or_b32 exec_lo, exec_lo, s84
.LBB0_7067:                             ;   in Loop: Header=BB0_7 Depth=1
	s_and_not1_saveexec_b32 s83, s83
; %bb.7068:                             ;   in Loop: Header=BB0_7 Depth=1
	s_delay_alu instid0(VALU_DEP_1)
	v_add_nc_u32_e32 v1, 0x70000000, v1
; %bb.7069:                             ;   in Loop: Header=BB0_7 Depth=1
	s_or_b32 exec_lo, exec_lo, s83
.LBB0_7070:                             ;   in Loop: Header=BB0_7 Depth=1
	s_and_not1_saveexec_b32 s82, s82
; %bb.7071:                             ;   in Loop: Header=BB0_7 Depth=1
	s_delay_alu instid0(VALU_DEP_1)
	v_add_nc_u32_e32 v1, 0x74000000, v1
; %bb.7072:                             ;   in Loop: Header=BB0_7 Depth=1
	s_or_b32 exec_lo, exec_lo, s82
.LBB0_7073:                             ;   in Loop: Header=BB0_7 Depth=1
	s_and_not1_saveexec_b32 s81, s81
; %bb.7074:                             ;   in Loop: Header=BB0_7 Depth=1
	s_delay_alu instid0(VALU_DEP_1)
	v_add_nc_u32_e32 v1, 0x78000000, v1
; %bb.7075:                             ;   in Loop: Header=BB0_7 Depth=1
	s_or_b32 exec_lo, exec_lo, s81
.LBB0_7076:                             ;   in Loop: Header=BB0_7 Depth=1
	s_and_not1_saveexec_b32 s62, s62
	s_cbranch_execz .LBB0_5
; %bb.7077:                             ;   in Loop: Header=BB0_7 Depth=1
	s_delay_alu instid0(VALU_DEP_1)
	v_add_nc_u32_e32 v1, 0x7c000000, v1
	s_branch .LBB0_5
.LBB0_7078:
	s_mov_b32 s0, 0
.LBB0_7079:
	s_delay_alu instid0(SALU_CYCLE_1)
	s_and_b32 vcc_lo, exec_lo, s0
	s_cbranch_vccz .LBB0_13930
; %bb.7080:
	s_clause 0x5
	s_load_b128 s[60:63], s[72:73], 0x0
	s_load_b128 s[64:67], s[74:75], 0x0
	s_load_b256 s[52:59], s[76:77], 0x0
	s_load_b512 s[0:15], s[78:79], 0x0
	; meta instruction
	; meta instruction
	;; [unrolled: 1-line block ×4, first 2 shown]
	s_load_b512 s[16:31], s[70:71], 0x0
	s_load_b512 s[36:51], s[68:69], 0x0
	s_mov_b32 s33, 0
	s_barrier_signal -1
	s_barrier_wait -1
	s_wait_storecnt 0x0
	s_branch .LBB0_7082
.LBB0_7081:                             ;   in Loop: Header=BB0_7082 Depth=1
	s_or_b32 exec_lo, exec_lo, s62
	s_or_b32 s62, s33, 60
	s_add_co_i32 s33, s33, 64
	v_lshl_add_u32 v0, s62, 12, v10
	s_cmp_gt_u32 s62, 0x7b
	global_store_b32 v0, v8, s[34:35] scale_offset
	s_cbranch_scc1 .LBB0_13930
.LBB0_7082:                             ; =>This Inner Loop Header: Depth=1
	s_wait_kmcnt 0x0
	s_mul_i32 s62, s33, 24
	s_mov_b32 s63, exec_lo
	s_add_co_i32 s62, s62, 0
	s_wait_xcnt 0x0
	v_mov_b32_e32 v0, s62
	ds_load_2addr_b64 v[12:15], v0 offset1:1
	ds_load_b64 v[8:9], v0 offset:16
	s_wait_dscnt 0x1
	v_mul_f64_e32 v[0:1], v[4:5], v[14:15]
	s_delay_alu instid0(VALU_DEP_1) | instskip(SKIP_1) | instid1(VALU_DEP_1)
	v_fmac_f64_e32 v[0:1], v[2:3], v[12:13]
	s_wait_dscnt 0x0
	v_fmac_f64_e32 v[0:1], v[6:7], v[8:9]
	v_mov_b32_e32 v9, 0x7c
	s_delay_alu instid0(VALU_DEP_2)
	v_cmpx_ngt_f64_e32 s[60:61], v[0:1]
	s_cbranch_execz .LBB0_7144
; %bb.7083:                             ;   in Loop: Header=BB0_7082 Depth=1
	v_mov_b32_e32 v9, 0x78
	s_mov_b32 s68, exec_lo
	v_cmpx_ngt_f64_e32 s[66:67], v[0:1]
	s_cbranch_execz .LBB0_7143
; %bb.7084:                             ;   in Loop: Header=BB0_7082 Depth=1
	v_mov_b32_e32 v9, 0x74
	s_mov_b32 s69, exec_lo
	v_cmpx_ngt_f64_e32 s[64:65], v[0:1]
	s_cbranch_execz .LBB0_7142
; %bb.7085:                             ;   in Loop: Header=BB0_7082 Depth=1
	v_mov_b32_e32 v9, 0x70
	s_mov_b32 s70, exec_lo
	v_cmpx_ngt_f64_e32 s[58:59], v[0:1]
	s_cbranch_execz .LBB0_7141
; %bb.7086:                             ;   in Loop: Header=BB0_7082 Depth=1
	v_mov_b32_e32 v9, 0x6c
	s_mov_b32 s71, exec_lo
	v_cmpx_ngt_f64_e32 s[56:57], v[0:1]
	s_cbranch_execz .LBB0_7140
; %bb.7087:                             ;   in Loop: Header=BB0_7082 Depth=1
	v_mov_b32_e32 v9, 0x68
	s_mov_b32 s72, exec_lo
	v_cmpx_ngt_f64_e32 s[54:55], v[0:1]
	s_cbranch_execz .LBB0_7139
; %bb.7088:                             ;   in Loop: Header=BB0_7082 Depth=1
	v_mov_b32_e32 v9, 0x64
	s_mov_b32 s73, exec_lo
	v_cmpx_ngt_f64_e32 s[52:53], v[0:1]
	s_cbranch_execz .LBB0_7138
; %bb.7089:                             ;   in Loop: Header=BB0_7082 Depth=1
	v_mov_b32_e32 v9, 0x60
	s_mov_b32 s74, exec_lo
	v_cmpx_ngt_f64_e32 s[14:15], v[0:1]
	s_cbranch_execz .LBB0_7137
; %bb.7090:                             ;   in Loop: Header=BB0_7082 Depth=1
	v_mov_b32_e32 v9, 0x5c
	s_mov_b32 s75, exec_lo
	v_cmpx_ngt_f64_e32 s[12:13], v[0:1]
	s_cbranch_execz .LBB0_7136
; %bb.7091:                             ;   in Loop: Header=BB0_7082 Depth=1
	v_mov_b32_e32 v9, 0x58
	s_mov_b32 s76, exec_lo
	v_cmpx_ngt_f64_e32 s[10:11], v[0:1]
	s_cbranch_execz .LBB0_7135
; %bb.7092:                             ;   in Loop: Header=BB0_7082 Depth=1
	v_mov_b32_e32 v9, 0x54
	s_mov_b32 s77, exec_lo
	v_cmpx_ngt_f64_e32 s[8:9], v[0:1]
	s_cbranch_execz .LBB0_7134
; %bb.7093:                             ;   in Loop: Header=BB0_7082 Depth=1
	v_mov_b32_e32 v9, 0x50
	s_mov_b32 s78, exec_lo
	v_cmpx_ngt_f64_e32 s[6:7], v[0:1]
	s_cbranch_execz .LBB0_7133
; %bb.7094:                             ;   in Loop: Header=BB0_7082 Depth=1
	v_mov_b32_e32 v9, 0x4c
	s_mov_b32 s79, exec_lo
	v_cmpx_ngt_f64_e32 s[4:5], v[0:1]
	s_cbranch_execz .LBB0_7132
; %bb.7095:                             ;   in Loop: Header=BB0_7082 Depth=1
	v_mov_b32_e32 v9, 0x48
	s_mov_b32 s80, exec_lo
	v_cmpx_ngt_f64_e32 s[2:3], v[0:1]
	s_cbranch_execz .LBB0_7131
; %bb.7096:                             ;   in Loop: Header=BB0_7082 Depth=1
	v_mov_b32_e32 v9, 0x44
	s_mov_b32 s81, exec_lo
	v_cmpx_ngt_f64_e32 s[0:1], v[0:1]
	s_cbranch_execz .LBB0_7130
; %bb.7097:                             ;   in Loop: Header=BB0_7082 Depth=1
	v_mov_b32_e32 v9, 64
	s_mov_b32 s82, exec_lo
	v_cmpx_ngt_f64_e32 s[30:31], v[0:1]
	s_cbranch_execz .LBB0_7129
; %bb.7098:                             ;   in Loop: Header=BB0_7082 Depth=1
	v_mov_b32_e32 v9, 60
	s_mov_b32 s83, exec_lo
	v_cmpx_ngt_f64_e32 s[28:29], v[0:1]
	s_cbranch_execz .LBB0_7128
; %bb.7099:                             ;   in Loop: Header=BB0_7082 Depth=1
	v_mov_b32_e32 v9, 56
	s_mov_b32 s84, exec_lo
	v_cmpx_ngt_f64_e32 s[26:27], v[0:1]
	s_cbranch_execz .LBB0_7127
; %bb.7100:                             ;   in Loop: Header=BB0_7082 Depth=1
	v_mov_b32_e32 v9, 52
	s_mov_b32 s85, exec_lo
	v_cmpx_ngt_f64_e32 s[24:25], v[0:1]
	s_cbranch_execz .LBB0_7126
; %bb.7101:                             ;   in Loop: Header=BB0_7082 Depth=1
	v_mov_b32_e32 v9, 48
	s_mov_b32 s86, exec_lo
	v_cmpx_ngt_f64_e32 s[22:23], v[0:1]
	s_cbranch_execz .LBB0_7125
; %bb.7102:                             ;   in Loop: Header=BB0_7082 Depth=1
	v_mov_b32_e32 v9, 44
	s_mov_b32 s87, exec_lo
	v_cmpx_ngt_f64_e32 s[20:21], v[0:1]
	s_cbranch_execz .LBB0_7124
; %bb.7103:                             ;   in Loop: Header=BB0_7082 Depth=1
	v_mov_b32_e32 v9, 40
	s_mov_b32 s88, exec_lo
	v_cmpx_ngt_f64_e32 s[18:19], v[0:1]
	s_cbranch_execz .LBB0_7123
; %bb.7104:                             ;   in Loop: Header=BB0_7082 Depth=1
	v_mov_b32_e32 v9, 36
	s_mov_b32 s89, exec_lo
	v_cmpx_ngt_f64_e32 s[16:17], v[0:1]
	s_cbranch_execz .LBB0_7122
; %bb.7105:                             ;   in Loop: Header=BB0_7082 Depth=1
	v_mov_b32_e32 v9, 32
	s_mov_b32 s90, exec_lo
	v_cmpx_ngt_f64_e32 s[50:51], v[0:1]
	s_cbranch_execz .LBB0_7121
; %bb.7106:                             ;   in Loop: Header=BB0_7082 Depth=1
	v_mov_b32_e32 v9, 28
	s_mov_b32 s91, exec_lo
	v_cmpx_ngt_f64_e32 s[48:49], v[0:1]
	s_cbranch_execz .LBB0_7120
; %bb.7107:                             ;   in Loop: Header=BB0_7082 Depth=1
	v_mov_b32_e32 v9, 24
	s_mov_b32 s92, exec_lo
	v_cmpx_ngt_f64_e32 s[46:47], v[0:1]
	s_cbranch_execz .LBB0_7119
; %bb.7108:                             ;   in Loop: Header=BB0_7082 Depth=1
	v_mov_b32_e32 v9, 20
	s_mov_b32 s93, exec_lo
	v_cmpx_ngt_f64_e32 s[44:45], v[0:1]
	s_cbranch_execz .LBB0_7118
; %bb.7109:                             ;   in Loop: Header=BB0_7082 Depth=1
	v_mov_b32_e32 v9, 16
	s_mov_b32 s94, exec_lo
	v_cmpx_ngt_f64_e32 s[42:43], v[0:1]
	s_cbranch_execz .LBB0_7117
; %bb.7110:                             ;   in Loop: Header=BB0_7082 Depth=1
	v_mov_b32_e32 v9, 12
	s_mov_b32 s95, exec_lo
	v_cmpx_ngt_f64_e32 s[40:41], v[0:1]
	s_cbranch_execz .LBB0_7116
; %bb.7111:                             ;   in Loop: Header=BB0_7082 Depth=1
	v_mov_b32_e32 v9, 8
	s_mov_b32 s96, exec_lo
	v_cmpx_ngt_f64_e32 s[38:39], v[0:1]
	s_cbranch_execz .LBB0_7115
; %bb.7112:                             ;   in Loop: Header=BB0_7082 Depth=1
	v_mov_b32_e32 v9, 0
	s_mov_b32 s97, exec_lo
	v_cmpx_gt_f64_e32 s[36:37], v[0:1]
; %bb.7113:                             ;   in Loop: Header=BB0_7082 Depth=1
	v_mov_b32_e32 v9, 4
; %bb.7114:                             ;   in Loop: Header=BB0_7082 Depth=1
	s_or_b32 exec_lo, exec_lo, s97
.LBB0_7115:                             ;   in Loop: Header=BB0_7082 Depth=1
	s_delay_alu instid0(SALU_CYCLE_1)
	s_or_b32 exec_lo, exec_lo, s96
.LBB0_7116:                             ;   in Loop: Header=BB0_7082 Depth=1
	s_delay_alu instid0(SALU_CYCLE_1)
	s_or_b32 exec_lo, exec_lo, s95
.LBB0_7117:                             ;   in Loop: Header=BB0_7082 Depth=1
	s_delay_alu instid0(SALU_CYCLE_1)
	s_or_b32 exec_lo, exec_lo, s94
.LBB0_7118:                             ;   in Loop: Header=BB0_7082 Depth=1
	s_delay_alu instid0(SALU_CYCLE_1)
	s_or_b32 exec_lo, exec_lo, s93
.LBB0_7119:                             ;   in Loop: Header=BB0_7082 Depth=1
	s_delay_alu instid0(SALU_CYCLE_1)
	s_or_b32 exec_lo, exec_lo, s92
.LBB0_7120:                             ;   in Loop: Header=BB0_7082 Depth=1
	s_delay_alu instid0(SALU_CYCLE_1)
	s_or_b32 exec_lo, exec_lo, s91
.LBB0_7121:                             ;   in Loop: Header=BB0_7082 Depth=1
	s_delay_alu instid0(SALU_CYCLE_1)
	s_or_b32 exec_lo, exec_lo, s90
.LBB0_7122:                             ;   in Loop: Header=BB0_7082 Depth=1
	s_delay_alu instid0(SALU_CYCLE_1)
	s_or_b32 exec_lo, exec_lo, s89
.LBB0_7123:                             ;   in Loop: Header=BB0_7082 Depth=1
	s_delay_alu instid0(SALU_CYCLE_1)
	s_or_b32 exec_lo, exec_lo, s88
.LBB0_7124:                             ;   in Loop: Header=BB0_7082 Depth=1
	s_delay_alu instid0(SALU_CYCLE_1)
	s_or_b32 exec_lo, exec_lo, s87
.LBB0_7125:                             ;   in Loop: Header=BB0_7082 Depth=1
	s_delay_alu instid0(SALU_CYCLE_1)
	s_or_b32 exec_lo, exec_lo, s86
.LBB0_7126:                             ;   in Loop: Header=BB0_7082 Depth=1
	s_delay_alu instid0(SALU_CYCLE_1)
	s_or_b32 exec_lo, exec_lo, s85
.LBB0_7127:                             ;   in Loop: Header=BB0_7082 Depth=1
	s_delay_alu instid0(SALU_CYCLE_1)
	s_or_b32 exec_lo, exec_lo, s84
.LBB0_7128:                             ;   in Loop: Header=BB0_7082 Depth=1
	s_delay_alu instid0(SALU_CYCLE_1)
	s_or_b32 exec_lo, exec_lo, s83
.LBB0_7129:                             ;   in Loop: Header=BB0_7082 Depth=1
	s_delay_alu instid0(SALU_CYCLE_1)
	s_or_b32 exec_lo, exec_lo, s82
.LBB0_7130:                             ;   in Loop: Header=BB0_7082 Depth=1
	s_delay_alu instid0(SALU_CYCLE_1)
	s_or_b32 exec_lo, exec_lo, s81
.LBB0_7131:                             ;   in Loop: Header=BB0_7082 Depth=1
	s_delay_alu instid0(SALU_CYCLE_1)
	s_or_b32 exec_lo, exec_lo, s80
.LBB0_7132:                             ;   in Loop: Header=BB0_7082 Depth=1
	s_delay_alu instid0(SALU_CYCLE_1)
	s_or_b32 exec_lo, exec_lo, s79
.LBB0_7133:                             ;   in Loop: Header=BB0_7082 Depth=1
	s_delay_alu instid0(SALU_CYCLE_1)
	s_or_b32 exec_lo, exec_lo, s78
.LBB0_7134:                             ;   in Loop: Header=BB0_7082 Depth=1
	s_delay_alu instid0(SALU_CYCLE_1)
	s_or_b32 exec_lo, exec_lo, s77
.LBB0_7135:                             ;   in Loop: Header=BB0_7082 Depth=1
	s_delay_alu instid0(SALU_CYCLE_1)
	s_or_b32 exec_lo, exec_lo, s76
.LBB0_7136:                             ;   in Loop: Header=BB0_7082 Depth=1
	s_delay_alu instid0(SALU_CYCLE_1)
	s_or_b32 exec_lo, exec_lo, s75
.LBB0_7137:                             ;   in Loop: Header=BB0_7082 Depth=1
	s_delay_alu instid0(SALU_CYCLE_1)
	s_or_b32 exec_lo, exec_lo, s74
.LBB0_7138:                             ;   in Loop: Header=BB0_7082 Depth=1
	s_delay_alu instid0(SALU_CYCLE_1)
	s_or_b32 exec_lo, exec_lo, s73
.LBB0_7139:                             ;   in Loop: Header=BB0_7082 Depth=1
	s_delay_alu instid0(SALU_CYCLE_1)
	s_or_b32 exec_lo, exec_lo, s72
.LBB0_7140:                             ;   in Loop: Header=BB0_7082 Depth=1
	s_delay_alu instid0(SALU_CYCLE_1)
	s_or_b32 exec_lo, exec_lo, s71
.LBB0_7141:                             ;   in Loop: Header=BB0_7082 Depth=1
	s_delay_alu instid0(SALU_CYCLE_1)
	s_or_b32 exec_lo, exec_lo, s70
.LBB0_7142:                             ;   in Loop: Header=BB0_7082 Depth=1
	s_delay_alu instid0(SALU_CYCLE_1)
	s_or_b32 exec_lo, exec_lo, s69
.LBB0_7143:                             ;   in Loop: Header=BB0_7082 Depth=1
	s_delay_alu instid0(SALU_CYCLE_1)
	s_or_b32 exec_lo, exec_lo, s68
.LBB0_7144:                             ;   in Loop: Header=BB0_7082 Depth=1
	s_delay_alu instid0(SALU_CYCLE_1)
	s_or_b32 exec_lo, exec_lo, s63
	v_mov_b32_e32 v0, s62
	s_mov_b32 s63, exec_lo
	ds_load_2addr_b64 v[12:15], v0 offset0:3 offset1:4
	ds_load_b64 v[16:17], v0 offset:40
	s_wait_dscnt 0x1
	v_mul_f64_e32 v[0:1], v[4:5], v[14:15]
	s_delay_alu instid0(VALU_DEP_1) | instskip(SKIP_1) | instid1(VALU_DEP_1)
	v_fmac_f64_e32 v[0:1], v[2:3], v[12:13]
	s_wait_dscnt 0x0
	v_fmac_f64_e32 v[0:1], v[6:7], v[16:17]
	s_delay_alu instid0(VALU_DEP_1)
	v_cmpx_ngt_f64_e32 s[60:61], v[0:1]
	s_xor_b32 s63, exec_lo, s63
	s_cbranch_execz .LBB0_7264
; %bb.7145:                             ;   in Loop: Header=BB0_7082 Depth=1
	s_mov_b32 s68, exec_lo
	v_cmpx_ngt_f64_e32 s[66:67], v[0:1]
	s_xor_b32 s68, exec_lo, s68
	s_cbranch_execz .LBB0_7261
; %bb.7146:                             ;   in Loop: Header=BB0_7082 Depth=1
	s_mov_b32 s69, exec_lo
	;; [unrolled: 5-line block ×30, first 2 shown]
	v_cmpx_gt_f64_e32 s[36:37], v[0:1]
; %bb.7175:                             ;   in Loop: Header=BB0_7082 Depth=1
	v_or_b32_e32 v9, 0x400, v9
; %bb.7176:                             ;   in Loop: Header=BB0_7082 Depth=1
	s_or_b32 exec_lo, exec_lo, s97
.LBB0_7177:                             ;   in Loop: Header=BB0_7082 Depth=1
	s_and_not1_saveexec_b32 s96, s96
; %bb.7178:                             ;   in Loop: Header=BB0_7082 Depth=1
	s_delay_alu instid0(VALU_DEP_1)
	v_or_b32_e32 v9, 0x800, v9
; %bb.7179:                             ;   in Loop: Header=BB0_7082 Depth=1
	s_or_b32 exec_lo, exec_lo, s96
.LBB0_7180:                             ;   in Loop: Header=BB0_7082 Depth=1
	s_and_not1_saveexec_b32 s95, s95
; %bb.7181:                             ;   in Loop: Header=BB0_7082 Depth=1
	s_delay_alu instid0(VALU_DEP_1)
	v_or_b32_e32 v9, 0xc00, v9
; %bb.7182:                             ;   in Loop: Header=BB0_7082 Depth=1
	s_or_b32 exec_lo, exec_lo, s95
.LBB0_7183:                             ;   in Loop: Header=BB0_7082 Depth=1
	s_and_not1_saveexec_b32 s94, s94
; %bb.7184:                             ;   in Loop: Header=BB0_7082 Depth=1
	s_delay_alu instid0(VALU_DEP_1)
	v_or_b32_e32 v9, 0x1000, v9
; %bb.7185:                             ;   in Loop: Header=BB0_7082 Depth=1
	s_or_b32 exec_lo, exec_lo, s94
.LBB0_7186:                             ;   in Loop: Header=BB0_7082 Depth=1
	s_and_not1_saveexec_b32 s93, s93
; %bb.7187:                             ;   in Loop: Header=BB0_7082 Depth=1
	s_delay_alu instid0(VALU_DEP_1)
	v_or_b32_e32 v9, 0x1400, v9
; %bb.7188:                             ;   in Loop: Header=BB0_7082 Depth=1
	s_or_b32 exec_lo, exec_lo, s93
.LBB0_7189:                             ;   in Loop: Header=BB0_7082 Depth=1
	s_and_not1_saveexec_b32 s92, s92
; %bb.7190:                             ;   in Loop: Header=BB0_7082 Depth=1
	s_delay_alu instid0(VALU_DEP_1)
	v_or_b32_e32 v9, 0x1800, v9
; %bb.7191:                             ;   in Loop: Header=BB0_7082 Depth=1
	s_or_b32 exec_lo, exec_lo, s92
.LBB0_7192:                             ;   in Loop: Header=BB0_7082 Depth=1
	s_and_not1_saveexec_b32 s91, s91
; %bb.7193:                             ;   in Loop: Header=BB0_7082 Depth=1
	s_delay_alu instid0(VALU_DEP_1)
	v_or_b32_e32 v9, 0x1c00, v9
; %bb.7194:                             ;   in Loop: Header=BB0_7082 Depth=1
	s_or_b32 exec_lo, exec_lo, s91
.LBB0_7195:                             ;   in Loop: Header=BB0_7082 Depth=1
	s_and_not1_saveexec_b32 s90, s90
; %bb.7196:                             ;   in Loop: Header=BB0_7082 Depth=1
	s_delay_alu instid0(VALU_DEP_1)
	v_or_b32_e32 v9, 0x2000, v9
; %bb.7197:                             ;   in Loop: Header=BB0_7082 Depth=1
	s_or_b32 exec_lo, exec_lo, s90
.LBB0_7198:                             ;   in Loop: Header=BB0_7082 Depth=1
	s_and_not1_saveexec_b32 s89, s89
; %bb.7199:                             ;   in Loop: Header=BB0_7082 Depth=1
	s_delay_alu instid0(VALU_DEP_1)
	v_or_b32_e32 v9, 0x2400, v9
; %bb.7200:                             ;   in Loop: Header=BB0_7082 Depth=1
	s_or_b32 exec_lo, exec_lo, s89
.LBB0_7201:                             ;   in Loop: Header=BB0_7082 Depth=1
	s_and_not1_saveexec_b32 s88, s88
; %bb.7202:                             ;   in Loop: Header=BB0_7082 Depth=1
	s_delay_alu instid0(VALU_DEP_1)
	v_or_b32_e32 v9, 0x2800, v9
; %bb.7203:                             ;   in Loop: Header=BB0_7082 Depth=1
	s_or_b32 exec_lo, exec_lo, s88
.LBB0_7204:                             ;   in Loop: Header=BB0_7082 Depth=1
	s_and_not1_saveexec_b32 s87, s87
; %bb.7205:                             ;   in Loop: Header=BB0_7082 Depth=1
	s_delay_alu instid0(VALU_DEP_1)
	v_or_b32_e32 v9, 0x2c00, v9
; %bb.7206:                             ;   in Loop: Header=BB0_7082 Depth=1
	s_or_b32 exec_lo, exec_lo, s87
.LBB0_7207:                             ;   in Loop: Header=BB0_7082 Depth=1
	s_and_not1_saveexec_b32 s86, s86
; %bb.7208:                             ;   in Loop: Header=BB0_7082 Depth=1
	s_delay_alu instid0(VALU_DEP_1)
	v_or_b32_e32 v9, 0x3000, v9
; %bb.7209:                             ;   in Loop: Header=BB0_7082 Depth=1
	s_or_b32 exec_lo, exec_lo, s86
.LBB0_7210:                             ;   in Loop: Header=BB0_7082 Depth=1
	s_and_not1_saveexec_b32 s85, s85
; %bb.7211:                             ;   in Loop: Header=BB0_7082 Depth=1
	s_delay_alu instid0(VALU_DEP_1)
	v_or_b32_e32 v9, 0x3400, v9
; %bb.7212:                             ;   in Loop: Header=BB0_7082 Depth=1
	s_or_b32 exec_lo, exec_lo, s85
.LBB0_7213:                             ;   in Loop: Header=BB0_7082 Depth=1
	s_and_not1_saveexec_b32 s84, s84
; %bb.7214:                             ;   in Loop: Header=BB0_7082 Depth=1
	s_delay_alu instid0(VALU_DEP_1)
	v_or_b32_e32 v9, 0x3800, v9
; %bb.7215:                             ;   in Loop: Header=BB0_7082 Depth=1
	s_or_b32 exec_lo, exec_lo, s84
.LBB0_7216:                             ;   in Loop: Header=BB0_7082 Depth=1
	s_and_not1_saveexec_b32 s83, s83
; %bb.7217:                             ;   in Loop: Header=BB0_7082 Depth=1
	s_delay_alu instid0(VALU_DEP_1)
	v_or_b32_e32 v9, 0x3c00, v9
; %bb.7218:                             ;   in Loop: Header=BB0_7082 Depth=1
	s_or_b32 exec_lo, exec_lo, s83
.LBB0_7219:                             ;   in Loop: Header=BB0_7082 Depth=1
	s_and_not1_saveexec_b32 s82, s82
; %bb.7220:                             ;   in Loop: Header=BB0_7082 Depth=1
	s_delay_alu instid0(VALU_DEP_1)
	v_or_b32_e32 v9, 0x4000, v9
; %bb.7221:                             ;   in Loop: Header=BB0_7082 Depth=1
	s_or_b32 exec_lo, exec_lo, s82
.LBB0_7222:                             ;   in Loop: Header=BB0_7082 Depth=1
	s_and_not1_saveexec_b32 s81, s81
; %bb.7223:                             ;   in Loop: Header=BB0_7082 Depth=1
	s_delay_alu instid0(VALU_DEP_1)
	v_or_b32_e32 v9, 0x4400, v9
; %bb.7224:                             ;   in Loop: Header=BB0_7082 Depth=1
	s_or_b32 exec_lo, exec_lo, s81
.LBB0_7225:                             ;   in Loop: Header=BB0_7082 Depth=1
	s_and_not1_saveexec_b32 s80, s80
; %bb.7226:                             ;   in Loop: Header=BB0_7082 Depth=1
	s_delay_alu instid0(VALU_DEP_1)
	v_or_b32_e32 v9, 0x4800, v9
; %bb.7227:                             ;   in Loop: Header=BB0_7082 Depth=1
	s_or_b32 exec_lo, exec_lo, s80
.LBB0_7228:                             ;   in Loop: Header=BB0_7082 Depth=1
	s_and_not1_saveexec_b32 s79, s79
; %bb.7229:                             ;   in Loop: Header=BB0_7082 Depth=1
	s_delay_alu instid0(VALU_DEP_1)
	v_or_b32_e32 v9, 0x4c00, v9
; %bb.7230:                             ;   in Loop: Header=BB0_7082 Depth=1
	s_or_b32 exec_lo, exec_lo, s79
.LBB0_7231:                             ;   in Loop: Header=BB0_7082 Depth=1
	s_and_not1_saveexec_b32 s78, s78
; %bb.7232:                             ;   in Loop: Header=BB0_7082 Depth=1
	s_delay_alu instid0(VALU_DEP_1)
	v_or_b32_e32 v9, 0x5000, v9
; %bb.7233:                             ;   in Loop: Header=BB0_7082 Depth=1
	s_or_b32 exec_lo, exec_lo, s78
.LBB0_7234:                             ;   in Loop: Header=BB0_7082 Depth=1
	s_and_not1_saveexec_b32 s77, s77
; %bb.7235:                             ;   in Loop: Header=BB0_7082 Depth=1
	s_delay_alu instid0(VALU_DEP_1)
	v_or_b32_e32 v9, 0x5400, v9
; %bb.7236:                             ;   in Loop: Header=BB0_7082 Depth=1
	s_or_b32 exec_lo, exec_lo, s77
.LBB0_7237:                             ;   in Loop: Header=BB0_7082 Depth=1
	s_and_not1_saveexec_b32 s76, s76
; %bb.7238:                             ;   in Loop: Header=BB0_7082 Depth=1
	s_delay_alu instid0(VALU_DEP_1)
	v_or_b32_e32 v9, 0x5800, v9
; %bb.7239:                             ;   in Loop: Header=BB0_7082 Depth=1
	s_or_b32 exec_lo, exec_lo, s76
.LBB0_7240:                             ;   in Loop: Header=BB0_7082 Depth=1
	s_and_not1_saveexec_b32 s75, s75
; %bb.7241:                             ;   in Loop: Header=BB0_7082 Depth=1
	s_delay_alu instid0(VALU_DEP_1)
	v_or_b32_e32 v9, 0x5c00, v9
; %bb.7242:                             ;   in Loop: Header=BB0_7082 Depth=1
	s_or_b32 exec_lo, exec_lo, s75
.LBB0_7243:                             ;   in Loop: Header=BB0_7082 Depth=1
	s_and_not1_saveexec_b32 s74, s74
; %bb.7244:                             ;   in Loop: Header=BB0_7082 Depth=1
	s_delay_alu instid0(VALU_DEP_1)
	v_or_b32_e32 v9, 0x6000, v9
; %bb.7245:                             ;   in Loop: Header=BB0_7082 Depth=1
	s_or_b32 exec_lo, exec_lo, s74
.LBB0_7246:                             ;   in Loop: Header=BB0_7082 Depth=1
	s_and_not1_saveexec_b32 s73, s73
; %bb.7247:                             ;   in Loop: Header=BB0_7082 Depth=1
	s_delay_alu instid0(VALU_DEP_1)
	v_or_b32_e32 v9, 0x6400, v9
; %bb.7248:                             ;   in Loop: Header=BB0_7082 Depth=1
	s_or_b32 exec_lo, exec_lo, s73
.LBB0_7249:                             ;   in Loop: Header=BB0_7082 Depth=1
	s_and_not1_saveexec_b32 s72, s72
; %bb.7250:                             ;   in Loop: Header=BB0_7082 Depth=1
	s_delay_alu instid0(VALU_DEP_1)
	v_or_b32_e32 v9, 0x6800, v9
; %bb.7251:                             ;   in Loop: Header=BB0_7082 Depth=1
	s_or_b32 exec_lo, exec_lo, s72
.LBB0_7252:                             ;   in Loop: Header=BB0_7082 Depth=1
	s_and_not1_saveexec_b32 s71, s71
; %bb.7253:                             ;   in Loop: Header=BB0_7082 Depth=1
	s_delay_alu instid0(VALU_DEP_1)
	v_or_b32_e32 v9, 0x6c00, v9
; %bb.7254:                             ;   in Loop: Header=BB0_7082 Depth=1
	s_or_b32 exec_lo, exec_lo, s71
.LBB0_7255:                             ;   in Loop: Header=BB0_7082 Depth=1
	s_and_not1_saveexec_b32 s70, s70
; %bb.7256:                             ;   in Loop: Header=BB0_7082 Depth=1
	s_delay_alu instid0(VALU_DEP_1)
	v_or_b32_e32 v9, 0x7000, v9
; %bb.7257:                             ;   in Loop: Header=BB0_7082 Depth=1
	s_or_b32 exec_lo, exec_lo, s70
.LBB0_7258:                             ;   in Loop: Header=BB0_7082 Depth=1
	s_and_not1_saveexec_b32 s69, s69
; %bb.7259:                             ;   in Loop: Header=BB0_7082 Depth=1
	s_delay_alu instid0(VALU_DEP_1)
	v_or_b32_e32 v9, 0x7400, v9
; %bb.7260:                             ;   in Loop: Header=BB0_7082 Depth=1
	s_or_b32 exec_lo, exec_lo, s69
.LBB0_7261:                             ;   in Loop: Header=BB0_7082 Depth=1
	s_and_not1_saveexec_b32 s68, s68
; %bb.7262:                             ;   in Loop: Header=BB0_7082 Depth=1
	s_delay_alu instid0(VALU_DEP_1)
	v_or_b32_e32 v9, 0x7800, v9
; %bb.7263:                             ;   in Loop: Header=BB0_7082 Depth=1
	s_or_b32 exec_lo, exec_lo, s68
.LBB0_7264:                             ;   in Loop: Header=BB0_7082 Depth=1
	s_and_not1_saveexec_b32 s63, s63
; %bb.7265:                             ;   in Loop: Header=BB0_7082 Depth=1
	s_delay_alu instid0(VALU_DEP_1)
	v_or_b32_e32 v9, 0x7c00, v9
; %bb.7266:                             ;   in Loop: Header=BB0_7082 Depth=1
	s_or_b32 exec_lo, exec_lo, s63
	v_mov_b32_e32 v0, s62
	s_mov_b32 s63, exec_lo
	ds_load_2addr_b64 v[12:15], v0 offset0:6 offset1:7
	ds_load_b64 v[16:17], v0 offset:64
	s_wait_dscnt 0x1
	v_mul_f64_e32 v[0:1], v[4:5], v[14:15]
	s_delay_alu instid0(VALU_DEP_1) | instskip(SKIP_1) | instid1(VALU_DEP_1)
	v_fmac_f64_e32 v[0:1], v[2:3], v[12:13]
	s_wait_dscnt 0x0
	v_fmac_f64_e32 v[0:1], v[6:7], v[16:17]
	s_delay_alu instid0(VALU_DEP_1)
	v_cmpx_ngt_f64_e32 s[60:61], v[0:1]
	s_xor_b32 s63, exec_lo, s63
	s_cbranch_execz .LBB0_7386
; %bb.7267:                             ;   in Loop: Header=BB0_7082 Depth=1
	s_mov_b32 s68, exec_lo
	v_cmpx_ngt_f64_e32 s[66:67], v[0:1]
	s_xor_b32 s68, exec_lo, s68
	s_cbranch_execz .LBB0_7383
; %bb.7268:                             ;   in Loop: Header=BB0_7082 Depth=1
	s_mov_b32 s69, exec_lo
	;; [unrolled: 5-line block ×30, first 2 shown]
	v_cmpx_gt_f64_e32 s[36:37], v[0:1]
; %bb.7297:                             ;   in Loop: Header=BB0_7082 Depth=1
	v_add_nc_u32_e32 v9, 0x40000, v9
; %bb.7298:                             ;   in Loop: Header=BB0_7082 Depth=1
	s_or_b32 exec_lo, exec_lo, s97
.LBB0_7299:                             ;   in Loop: Header=BB0_7082 Depth=1
	s_and_not1_saveexec_b32 s96, s96
; %bb.7300:                             ;   in Loop: Header=BB0_7082 Depth=1
	s_delay_alu instid0(VALU_DEP_1)
	v_add_nc_u32_e32 v9, 0x80000, v9
; %bb.7301:                             ;   in Loop: Header=BB0_7082 Depth=1
	s_or_b32 exec_lo, exec_lo, s96
.LBB0_7302:                             ;   in Loop: Header=BB0_7082 Depth=1
	s_and_not1_saveexec_b32 s95, s95
; %bb.7303:                             ;   in Loop: Header=BB0_7082 Depth=1
	s_delay_alu instid0(VALU_DEP_1)
	v_add_nc_u32_e32 v9, 0xc0000, v9
; %bb.7304:                             ;   in Loop: Header=BB0_7082 Depth=1
	s_or_b32 exec_lo, exec_lo, s95
.LBB0_7305:                             ;   in Loop: Header=BB0_7082 Depth=1
	s_and_not1_saveexec_b32 s94, s94
; %bb.7306:                             ;   in Loop: Header=BB0_7082 Depth=1
	s_delay_alu instid0(VALU_DEP_1)
	v_add_nc_u32_e32 v9, 0x100000, v9
; %bb.7307:                             ;   in Loop: Header=BB0_7082 Depth=1
	s_or_b32 exec_lo, exec_lo, s94
.LBB0_7308:                             ;   in Loop: Header=BB0_7082 Depth=1
	s_and_not1_saveexec_b32 s93, s93
; %bb.7309:                             ;   in Loop: Header=BB0_7082 Depth=1
	s_delay_alu instid0(VALU_DEP_1)
	v_add_nc_u32_e32 v9, 0x140000, v9
; %bb.7310:                             ;   in Loop: Header=BB0_7082 Depth=1
	s_or_b32 exec_lo, exec_lo, s93
.LBB0_7311:                             ;   in Loop: Header=BB0_7082 Depth=1
	s_and_not1_saveexec_b32 s92, s92
; %bb.7312:                             ;   in Loop: Header=BB0_7082 Depth=1
	s_delay_alu instid0(VALU_DEP_1)
	v_add_nc_u32_e32 v9, 0x180000, v9
; %bb.7313:                             ;   in Loop: Header=BB0_7082 Depth=1
	s_or_b32 exec_lo, exec_lo, s92
.LBB0_7314:                             ;   in Loop: Header=BB0_7082 Depth=1
	s_and_not1_saveexec_b32 s91, s91
; %bb.7315:                             ;   in Loop: Header=BB0_7082 Depth=1
	s_delay_alu instid0(VALU_DEP_1)
	v_add_nc_u32_e32 v9, 0x1c0000, v9
; %bb.7316:                             ;   in Loop: Header=BB0_7082 Depth=1
	s_or_b32 exec_lo, exec_lo, s91
.LBB0_7317:                             ;   in Loop: Header=BB0_7082 Depth=1
	s_and_not1_saveexec_b32 s90, s90
; %bb.7318:                             ;   in Loop: Header=BB0_7082 Depth=1
	s_delay_alu instid0(VALU_DEP_1)
	v_add_nc_u32_e32 v9, 0x200000, v9
; %bb.7319:                             ;   in Loop: Header=BB0_7082 Depth=1
	s_or_b32 exec_lo, exec_lo, s90
.LBB0_7320:                             ;   in Loop: Header=BB0_7082 Depth=1
	s_and_not1_saveexec_b32 s89, s89
; %bb.7321:                             ;   in Loop: Header=BB0_7082 Depth=1
	s_delay_alu instid0(VALU_DEP_1)
	v_add_nc_u32_e32 v9, 0x240000, v9
; %bb.7322:                             ;   in Loop: Header=BB0_7082 Depth=1
	s_or_b32 exec_lo, exec_lo, s89
.LBB0_7323:                             ;   in Loop: Header=BB0_7082 Depth=1
	s_and_not1_saveexec_b32 s88, s88
; %bb.7324:                             ;   in Loop: Header=BB0_7082 Depth=1
	s_delay_alu instid0(VALU_DEP_1)
	v_add_nc_u32_e32 v9, 0x280000, v9
; %bb.7325:                             ;   in Loop: Header=BB0_7082 Depth=1
	s_or_b32 exec_lo, exec_lo, s88
.LBB0_7326:                             ;   in Loop: Header=BB0_7082 Depth=1
	s_and_not1_saveexec_b32 s87, s87
; %bb.7327:                             ;   in Loop: Header=BB0_7082 Depth=1
	s_delay_alu instid0(VALU_DEP_1)
	v_add_nc_u32_e32 v9, 0x2c0000, v9
; %bb.7328:                             ;   in Loop: Header=BB0_7082 Depth=1
	s_or_b32 exec_lo, exec_lo, s87
.LBB0_7329:                             ;   in Loop: Header=BB0_7082 Depth=1
	s_and_not1_saveexec_b32 s86, s86
; %bb.7330:                             ;   in Loop: Header=BB0_7082 Depth=1
	s_delay_alu instid0(VALU_DEP_1)
	v_add_nc_u32_e32 v9, 0x300000, v9
; %bb.7331:                             ;   in Loop: Header=BB0_7082 Depth=1
	s_or_b32 exec_lo, exec_lo, s86
.LBB0_7332:                             ;   in Loop: Header=BB0_7082 Depth=1
	s_and_not1_saveexec_b32 s85, s85
; %bb.7333:                             ;   in Loop: Header=BB0_7082 Depth=1
	s_delay_alu instid0(VALU_DEP_1)
	v_add_nc_u32_e32 v9, 0x340000, v9
; %bb.7334:                             ;   in Loop: Header=BB0_7082 Depth=1
	s_or_b32 exec_lo, exec_lo, s85
.LBB0_7335:                             ;   in Loop: Header=BB0_7082 Depth=1
	s_and_not1_saveexec_b32 s84, s84
; %bb.7336:                             ;   in Loop: Header=BB0_7082 Depth=1
	s_delay_alu instid0(VALU_DEP_1)
	v_add_nc_u32_e32 v9, 0x380000, v9
; %bb.7337:                             ;   in Loop: Header=BB0_7082 Depth=1
	s_or_b32 exec_lo, exec_lo, s84
.LBB0_7338:                             ;   in Loop: Header=BB0_7082 Depth=1
	s_and_not1_saveexec_b32 s83, s83
; %bb.7339:                             ;   in Loop: Header=BB0_7082 Depth=1
	s_delay_alu instid0(VALU_DEP_1)
	v_add_nc_u32_e32 v9, 0x3c0000, v9
; %bb.7340:                             ;   in Loop: Header=BB0_7082 Depth=1
	s_or_b32 exec_lo, exec_lo, s83
.LBB0_7341:                             ;   in Loop: Header=BB0_7082 Depth=1
	s_and_not1_saveexec_b32 s82, s82
; %bb.7342:                             ;   in Loop: Header=BB0_7082 Depth=1
	s_delay_alu instid0(VALU_DEP_1)
	v_add_nc_u32_e32 v9, 0x400000, v9
; %bb.7343:                             ;   in Loop: Header=BB0_7082 Depth=1
	s_or_b32 exec_lo, exec_lo, s82
.LBB0_7344:                             ;   in Loop: Header=BB0_7082 Depth=1
	s_and_not1_saveexec_b32 s81, s81
; %bb.7345:                             ;   in Loop: Header=BB0_7082 Depth=1
	s_delay_alu instid0(VALU_DEP_1)
	v_add_nc_u32_e32 v9, 0x440000, v9
; %bb.7346:                             ;   in Loop: Header=BB0_7082 Depth=1
	s_or_b32 exec_lo, exec_lo, s81
.LBB0_7347:                             ;   in Loop: Header=BB0_7082 Depth=1
	s_and_not1_saveexec_b32 s80, s80
; %bb.7348:                             ;   in Loop: Header=BB0_7082 Depth=1
	s_delay_alu instid0(VALU_DEP_1)
	v_add_nc_u32_e32 v9, 0x480000, v9
; %bb.7349:                             ;   in Loop: Header=BB0_7082 Depth=1
	s_or_b32 exec_lo, exec_lo, s80
.LBB0_7350:                             ;   in Loop: Header=BB0_7082 Depth=1
	s_and_not1_saveexec_b32 s79, s79
; %bb.7351:                             ;   in Loop: Header=BB0_7082 Depth=1
	s_delay_alu instid0(VALU_DEP_1)
	v_add_nc_u32_e32 v9, 0x4c0000, v9
; %bb.7352:                             ;   in Loop: Header=BB0_7082 Depth=1
	s_or_b32 exec_lo, exec_lo, s79
.LBB0_7353:                             ;   in Loop: Header=BB0_7082 Depth=1
	s_and_not1_saveexec_b32 s78, s78
; %bb.7354:                             ;   in Loop: Header=BB0_7082 Depth=1
	s_delay_alu instid0(VALU_DEP_1)
	v_add_nc_u32_e32 v9, 0x500000, v9
; %bb.7355:                             ;   in Loop: Header=BB0_7082 Depth=1
	s_or_b32 exec_lo, exec_lo, s78
.LBB0_7356:                             ;   in Loop: Header=BB0_7082 Depth=1
	s_and_not1_saveexec_b32 s77, s77
; %bb.7357:                             ;   in Loop: Header=BB0_7082 Depth=1
	s_delay_alu instid0(VALU_DEP_1)
	v_add_nc_u32_e32 v9, 0x540000, v9
; %bb.7358:                             ;   in Loop: Header=BB0_7082 Depth=1
	s_or_b32 exec_lo, exec_lo, s77
.LBB0_7359:                             ;   in Loop: Header=BB0_7082 Depth=1
	s_and_not1_saveexec_b32 s76, s76
; %bb.7360:                             ;   in Loop: Header=BB0_7082 Depth=1
	s_delay_alu instid0(VALU_DEP_1)
	v_add_nc_u32_e32 v9, 0x580000, v9
; %bb.7361:                             ;   in Loop: Header=BB0_7082 Depth=1
	s_or_b32 exec_lo, exec_lo, s76
.LBB0_7362:                             ;   in Loop: Header=BB0_7082 Depth=1
	s_and_not1_saveexec_b32 s75, s75
; %bb.7363:                             ;   in Loop: Header=BB0_7082 Depth=1
	s_delay_alu instid0(VALU_DEP_1)
	v_add_nc_u32_e32 v9, 0x5c0000, v9
; %bb.7364:                             ;   in Loop: Header=BB0_7082 Depth=1
	s_or_b32 exec_lo, exec_lo, s75
.LBB0_7365:                             ;   in Loop: Header=BB0_7082 Depth=1
	s_and_not1_saveexec_b32 s74, s74
; %bb.7366:                             ;   in Loop: Header=BB0_7082 Depth=1
	s_delay_alu instid0(VALU_DEP_1)
	v_add_nc_u32_e32 v9, 0x600000, v9
; %bb.7367:                             ;   in Loop: Header=BB0_7082 Depth=1
	s_or_b32 exec_lo, exec_lo, s74
.LBB0_7368:                             ;   in Loop: Header=BB0_7082 Depth=1
	s_and_not1_saveexec_b32 s73, s73
; %bb.7369:                             ;   in Loop: Header=BB0_7082 Depth=1
	s_delay_alu instid0(VALU_DEP_1)
	v_add_nc_u32_e32 v9, 0x640000, v9
; %bb.7370:                             ;   in Loop: Header=BB0_7082 Depth=1
	s_or_b32 exec_lo, exec_lo, s73
.LBB0_7371:                             ;   in Loop: Header=BB0_7082 Depth=1
	s_and_not1_saveexec_b32 s72, s72
; %bb.7372:                             ;   in Loop: Header=BB0_7082 Depth=1
	s_delay_alu instid0(VALU_DEP_1)
	v_add_nc_u32_e32 v9, 0x680000, v9
; %bb.7373:                             ;   in Loop: Header=BB0_7082 Depth=1
	s_or_b32 exec_lo, exec_lo, s72
.LBB0_7374:                             ;   in Loop: Header=BB0_7082 Depth=1
	s_and_not1_saveexec_b32 s71, s71
; %bb.7375:                             ;   in Loop: Header=BB0_7082 Depth=1
	s_delay_alu instid0(VALU_DEP_1)
	v_add_nc_u32_e32 v9, 0x6c0000, v9
; %bb.7376:                             ;   in Loop: Header=BB0_7082 Depth=1
	s_or_b32 exec_lo, exec_lo, s71
.LBB0_7377:                             ;   in Loop: Header=BB0_7082 Depth=1
	s_and_not1_saveexec_b32 s70, s70
; %bb.7378:                             ;   in Loop: Header=BB0_7082 Depth=1
	s_delay_alu instid0(VALU_DEP_1)
	v_add_nc_u32_e32 v9, 0x700000, v9
; %bb.7379:                             ;   in Loop: Header=BB0_7082 Depth=1
	s_or_b32 exec_lo, exec_lo, s70
.LBB0_7380:                             ;   in Loop: Header=BB0_7082 Depth=1
	s_and_not1_saveexec_b32 s69, s69
; %bb.7381:                             ;   in Loop: Header=BB0_7082 Depth=1
	s_delay_alu instid0(VALU_DEP_1)
	v_add_nc_u32_e32 v9, 0x740000, v9
; %bb.7382:                             ;   in Loop: Header=BB0_7082 Depth=1
	s_or_b32 exec_lo, exec_lo, s69
.LBB0_7383:                             ;   in Loop: Header=BB0_7082 Depth=1
	s_and_not1_saveexec_b32 s68, s68
; %bb.7384:                             ;   in Loop: Header=BB0_7082 Depth=1
	s_delay_alu instid0(VALU_DEP_1)
	v_add_nc_u32_e32 v9, 0x780000, v9
; %bb.7385:                             ;   in Loop: Header=BB0_7082 Depth=1
	s_or_b32 exec_lo, exec_lo, s68
.LBB0_7386:                             ;   in Loop: Header=BB0_7082 Depth=1
	s_and_not1_saveexec_b32 s63, s63
; %bb.7387:                             ;   in Loop: Header=BB0_7082 Depth=1
	s_delay_alu instid0(VALU_DEP_1)
	v_add_nc_u32_e32 v9, 0x7c0000, v9
; %bb.7388:                             ;   in Loop: Header=BB0_7082 Depth=1
	s_or_b32 exec_lo, exec_lo, s63
	v_mov_b32_e32 v0, s62
	s_mov_b32 s63, exec_lo
	ds_load_2addr_b64 v[12:15], v0 offset0:9 offset1:10
	ds_load_b64 v[16:17], v0 offset:88
	s_wait_dscnt 0x1
	v_mul_f64_e32 v[0:1], v[4:5], v[14:15]
	s_delay_alu instid0(VALU_DEP_1) | instskip(SKIP_1) | instid1(VALU_DEP_1)
	v_fmac_f64_e32 v[0:1], v[2:3], v[12:13]
	s_wait_dscnt 0x0
	v_fmac_f64_e32 v[0:1], v[6:7], v[16:17]
	s_delay_alu instid0(VALU_DEP_1)
	v_cmpx_ngt_f64_e32 s[60:61], v[0:1]
	s_xor_b32 s63, exec_lo, s63
	s_cbranch_execz .LBB0_7508
; %bb.7389:                             ;   in Loop: Header=BB0_7082 Depth=1
	s_mov_b32 s68, exec_lo
	v_cmpx_ngt_f64_e32 s[66:67], v[0:1]
	s_xor_b32 s68, exec_lo, s68
	s_cbranch_execz .LBB0_7505
; %bb.7390:                             ;   in Loop: Header=BB0_7082 Depth=1
	s_mov_b32 s69, exec_lo
	;; [unrolled: 5-line block ×30, first 2 shown]
	v_cmpx_gt_f64_e32 s[36:37], v[0:1]
; %bb.7419:                             ;   in Loop: Header=BB0_7082 Depth=1
	v_add_nc_u32_e32 v9, 0x4000000, v9
; %bb.7420:                             ;   in Loop: Header=BB0_7082 Depth=1
	s_or_b32 exec_lo, exec_lo, s97
.LBB0_7421:                             ;   in Loop: Header=BB0_7082 Depth=1
	s_and_not1_saveexec_b32 s96, s96
; %bb.7422:                             ;   in Loop: Header=BB0_7082 Depth=1
	s_delay_alu instid0(VALU_DEP_1)
	v_add_nc_u32_e32 v9, 0x8000000, v9
; %bb.7423:                             ;   in Loop: Header=BB0_7082 Depth=1
	s_or_b32 exec_lo, exec_lo, s96
.LBB0_7424:                             ;   in Loop: Header=BB0_7082 Depth=1
	s_and_not1_saveexec_b32 s95, s95
; %bb.7425:                             ;   in Loop: Header=BB0_7082 Depth=1
	s_delay_alu instid0(VALU_DEP_1)
	v_add_nc_u32_e32 v9, 0xc000000, v9
; %bb.7426:                             ;   in Loop: Header=BB0_7082 Depth=1
	s_or_b32 exec_lo, exec_lo, s95
.LBB0_7427:                             ;   in Loop: Header=BB0_7082 Depth=1
	s_and_not1_saveexec_b32 s94, s94
; %bb.7428:                             ;   in Loop: Header=BB0_7082 Depth=1
	s_delay_alu instid0(VALU_DEP_1)
	v_add_nc_u32_e32 v9, 0x10000000, v9
; %bb.7429:                             ;   in Loop: Header=BB0_7082 Depth=1
	s_or_b32 exec_lo, exec_lo, s94
.LBB0_7430:                             ;   in Loop: Header=BB0_7082 Depth=1
	s_and_not1_saveexec_b32 s93, s93
; %bb.7431:                             ;   in Loop: Header=BB0_7082 Depth=1
	s_delay_alu instid0(VALU_DEP_1)
	v_add_nc_u32_e32 v9, 0x14000000, v9
; %bb.7432:                             ;   in Loop: Header=BB0_7082 Depth=1
	s_or_b32 exec_lo, exec_lo, s93
.LBB0_7433:                             ;   in Loop: Header=BB0_7082 Depth=1
	s_and_not1_saveexec_b32 s92, s92
; %bb.7434:                             ;   in Loop: Header=BB0_7082 Depth=1
	s_delay_alu instid0(VALU_DEP_1)
	v_add_nc_u32_e32 v9, 0x18000000, v9
; %bb.7435:                             ;   in Loop: Header=BB0_7082 Depth=1
	s_or_b32 exec_lo, exec_lo, s92
.LBB0_7436:                             ;   in Loop: Header=BB0_7082 Depth=1
	s_and_not1_saveexec_b32 s91, s91
; %bb.7437:                             ;   in Loop: Header=BB0_7082 Depth=1
	s_delay_alu instid0(VALU_DEP_1)
	v_add_nc_u32_e32 v9, 0x1c000000, v9
; %bb.7438:                             ;   in Loop: Header=BB0_7082 Depth=1
	s_or_b32 exec_lo, exec_lo, s91
.LBB0_7439:                             ;   in Loop: Header=BB0_7082 Depth=1
	s_and_not1_saveexec_b32 s90, s90
; %bb.7440:                             ;   in Loop: Header=BB0_7082 Depth=1
	s_delay_alu instid0(VALU_DEP_1)
	v_add_nc_u32_e32 v9, 0x20000000, v9
; %bb.7441:                             ;   in Loop: Header=BB0_7082 Depth=1
	s_or_b32 exec_lo, exec_lo, s90
.LBB0_7442:                             ;   in Loop: Header=BB0_7082 Depth=1
	s_and_not1_saveexec_b32 s89, s89
; %bb.7443:                             ;   in Loop: Header=BB0_7082 Depth=1
	s_delay_alu instid0(VALU_DEP_1)
	v_add_nc_u32_e32 v9, 0x24000000, v9
; %bb.7444:                             ;   in Loop: Header=BB0_7082 Depth=1
	s_or_b32 exec_lo, exec_lo, s89
.LBB0_7445:                             ;   in Loop: Header=BB0_7082 Depth=1
	s_and_not1_saveexec_b32 s88, s88
; %bb.7446:                             ;   in Loop: Header=BB0_7082 Depth=1
	s_delay_alu instid0(VALU_DEP_1)
	v_add_nc_u32_e32 v9, 0x28000000, v9
; %bb.7447:                             ;   in Loop: Header=BB0_7082 Depth=1
	s_or_b32 exec_lo, exec_lo, s88
.LBB0_7448:                             ;   in Loop: Header=BB0_7082 Depth=1
	s_and_not1_saveexec_b32 s87, s87
; %bb.7449:                             ;   in Loop: Header=BB0_7082 Depth=1
	s_delay_alu instid0(VALU_DEP_1)
	v_add_nc_u32_e32 v9, 0x2c000000, v9
; %bb.7450:                             ;   in Loop: Header=BB0_7082 Depth=1
	s_or_b32 exec_lo, exec_lo, s87
.LBB0_7451:                             ;   in Loop: Header=BB0_7082 Depth=1
	s_and_not1_saveexec_b32 s86, s86
; %bb.7452:                             ;   in Loop: Header=BB0_7082 Depth=1
	s_delay_alu instid0(VALU_DEP_1)
	v_add_nc_u32_e32 v9, 0x30000000, v9
; %bb.7453:                             ;   in Loop: Header=BB0_7082 Depth=1
	s_or_b32 exec_lo, exec_lo, s86
.LBB0_7454:                             ;   in Loop: Header=BB0_7082 Depth=1
	s_and_not1_saveexec_b32 s85, s85
; %bb.7455:                             ;   in Loop: Header=BB0_7082 Depth=1
	s_delay_alu instid0(VALU_DEP_1)
	v_add_nc_u32_e32 v9, 0x34000000, v9
; %bb.7456:                             ;   in Loop: Header=BB0_7082 Depth=1
	s_or_b32 exec_lo, exec_lo, s85
.LBB0_7457:                             ;   in Loop: Header=BB0_7082 Depth=1
	s_and_not1_saveexec_b32 s84, s84
; %bb.7458:                             ;   in Loop: Header=BB0_7082 Depth=1
	s_delay_alu instid0(VALU_DEP_1)
	v_add_nc_u32_e32 v9, 0x38000000, v9
; %bb.7459:                             ;   in Loop: Header=BB0_7082 Depth=1
	s_or_b32 exec_lo, exec_lo, s84
.LBB0_7460:                             ;   in Loop: Header=BB0_7082 Depth=1
	s_and_not1_saveexec_b32 s83, s83
; %bb.7461:                             ;   in Loop: Header=BB0_7082 Depth=1
	s_delay_alu instid0(VALU_DEP_1)
	v_add_nc_u32_e32 v9, 0x3c000000, v9
; %bb.7462:                             ;   in Loop: Header=BB0_7082 Depth=1
	s_or_b32 exec_lo, exec_lo, s83
.LBB0_7463:                             ;   in Loop: Header=BB0_7082 Depth=1
	s_and_not1_saveexec_b32 s82, s82
; %bb.7464:                             ;   in Loop: Header=BB0_7082 Depth=1
	s_delay_alu instid0(VALU_DEP_1)
	v_add_nc_u32_e32 v9, 2.0, v9
; %bb.7465:                             ;   in Loop: Header=BB0_7082 Depth=1
	s_or_b32 exec_lo, exec_lo, s82
.LBB0_7466:                             ;   in Loop: Header=BB0_7082 Depth=1
	s_and_not1_saveexec_b32 s81, s81
; %bb.7467:                             ;   in Loop: Header=BB0_7082 Depth=1
	s_delay_alu instid0(VALU_DEP_1)
	v_add_nc_u32_e32 v9, 0x44000000, v9
; %bb.7468:                             ;   in Loop: Header=BB0_7082 Depth=1
	s_or_b32 exec_lo, exec_lo, s81
.LBB0_7469:                             ;   in Loop: Header=BB0_7082 Depth=1
	s_and_not1_saveexec_b32 s80, s80
; %bb.7470:                             ;   in Loop: Header=BB0_7082 Depth=1
	s_delay_alu instid0(VALU_DEP_1)
	v_add_nc_u32_e32 v9, 0x48000000, v9
; %bb.7471:                             ;   in Loop: Header=BB0_7082 Depth=1
	s_or_b32 exec_lo, exec_lo, s80
.LBB0_7472:                             ;   in Loop: Header=BB0_7082 Depth=1
	s_and_not1_saveexec_b32 s79, s79
; %bb.7473:                             ;   in Loop: Header=BB0_7082 Depth=1
	s_delay_alu instid0(VALU_DEP_1)
	v_add_nc_u32_e32 v9, 0x4c000000, v9
; %bb.7474:                             ;   in Loop: Header=BB0_7082 Depth=1
	s_or_b32 exec_lo, exec_lo, s79
.LBB0_7475:                             ;   in Loop: Header=BB0_7082 Depth=1
	s_and_not1_saveexec_b32 s78, s78
; %bb.7476:                             ;   in Loop: Header=BB0_7082 Depth=1
	s_delay_alu instid0(VALU_DEP_1)
	v_add_nc_u32_e32 v9, 0x50000000, v9
; %bb.7477:                             ;   in Loop: Header=BB0_7082 Depth=1
	s_or_b32 exec_lo, exec_lo, s78
.LBB0_7478:                             ;   in Loop: Header=BB0_7082 Depth=1
	s_and_not1_saveexec_b32 s77, s77
; %bb.7479:                             ;   in Loop: Header=BB0_7082 Depth=1
	s_delay_alu instid0(VALU_DEP_1)
	v_add_nc_u32_e32 v9, 0x54000000, v9
; %bb.7480:                             ;   in Loop: Header=BB0_7082 Depth=1
	s_or_b32 exec_lo, exec_lo, s77
.LBB0_7481:                             ;   in Loop: Header=BB0_7082 Depth=1
	s_and_not1_saveexec_b32 s76, s76
; %bb.7482:                             ;   in Loop: Header=BB0_7082 Depth=1
	s_delay_alu instid0(VALU_DEP_1)
	v_add_nc_u32_e32 v9, 0x58000000, v9
; %bb.7483:                             ;   in Loop: Header=BB0_7082 Depth=1
	s_or_b32 exec_lo, exec_lo, s76
.LBB0_7484:                             ;   in Loop: Header=BB0_7082 Depth=1
	s_and_not1_saveexec_b32 s75, s75
; %bb.7485:                             ;   in Loop: Header=BB0_7082 Depth=1
	s_delay_alu instid0(VALU_DEP_1)
	v_add_nc_u32_e32 v9, 0x5c000000, v9
; %bb.7486:                             ;   in Loop: Header=BB0_7082 Depth=1
	s_or_b32 exec_lo, exec_lo, s75
.LBB0_7487:                             ;   in Loop: Header=BB0_7082 Depth=1
	s_and_not1_saveexec_b32 s74, s74
; %bb.7488:                             ;   in Loop: Header=BB0_7082 Depth=1
	s_delay_alu instid0(VALU_DEP_1)
	v_add_nc_u32_e32 v9, 0x60000000, v9
; %bb.7489:                             ;   in Loop: Header=BB0_7082 Depth=1
	s_or_b32 exec_lo, exec_lo, s74
.LBB0_7490:                             ;   in Loop: Header=BB0_7082 Depth=1
	s_and_not1_saveexec_b32 s73, s73
; %bb.7491:                             ;   in Loop: Header=BB0_7082 Depth=1
	s_delay_alu instid0(VALU_DEP_1)
	v_add_nc_u32_e32 v9, 0x64000000, v9
; %bb.7492:                             ;   in Loop: Header=BB0_7082 Depth=1
	s_or_b32 exec_lo, exec_lo, s73
.LBB0_7493:                             ;   in Loop: Header=BB0_7082 Depth=1
	s_and_not1_saveexec_b32 s72, s72
; %bb.7494:                             ;   in Loop: Header=BB0_7082 Depth=1
	s_delay_alu instid0(VALU_DEP_1)
	v_add_nc_u32_e32 v9, 0x68000000, v9
; %bb.7495:                             ;   in Loop: Header=BB0_7082 Depth=1
	s_or_b32 exec_lo, exec_lo, s72
.LBB0_7496:                             ;   in Loop: Header=BB0_7082 Depth=1
	s_and_not1_saveexec_b32 s71, s71
; %bb.7497:                             ;   in Loop: Header=BB0_7082 Depth=1
	s_delay_alu instid0(VALU_DEP_1)
	v_add_nc_u32_e32 v9, 0x6c000000, v9
; %bb.7498:                             ;   in Loop: Header=BB0_7082 Depth=1
	s_or_b32 exec_lo, exec_lo, s71
.LBB0_7499:                             ;   in Loop: Header=BB0_7082 Depth=1
	s_and_not1_saveexec_b32 s70, s70
; %bb.7500:                             ;   in Loop: Header=BB0_7082 Depth=1
	s_delay_alu instid0(VALU_DEP_1)
	v_add_nc_u32_e32 v9, 0x70000000, v9
; %bb.7501:                             ;   in Loop: Header=BB0_7082 Depth=1
	s_or_b32 exec_lo, exec_lo, s70
.LBB0_7502:                             ;   in Loop: Header=BB0_7082 Depth=1
	s_and_not1_saveexec_b32 s69, s69
; %bb.7503:                             ;   in Loop: Header=BB0_7082 Depth=1
	s_delay_alu instid0(VALU_DEP_1)
	v_add_nc_u32_e32 v9, 0x74000000, v9
; %bb.7504:                             ;   in Loop: Header=BB0_7082 Depth=1
	s_or_b32 exec_lo, exec_lo, s69
.LBB0_7505:                             ;   in Loop: Header=BB0_7082 Depth=1
	s_and_not1_saveexec_b32 s68, s68
; %bb.7506:                             ;   in Loop: Header=BB0_7082 Depth=1
	s_delay_alu instid0(VALU_DEP_1)
	v_add_nc_u32_e32 v9, 0x78000000, v9
; %bb.7507:                             ;   in Loop: Header=BB0_7082 Depth=1
	s_or_b32 exec_lo, exec_lo, s68
.LBB0_7508:                             ;   in Loop: Header=BB0_7082 Depth=1
	s_and_not1_saveexec_b32 s63, s63
; %bb.7509:                             ;   in Loop: Header=BB0_7082 Depth=1
	s_delay_alu instid0(VALU_DEP_1)
	v_add_nc_u32_e32 v9, 0x7c000000, v9
; %bb.7510:                             ;   in Loop: Header=BB0_7082 Depth=1
	s_or_b32 exec_lo, exec_lo, s63
	v_mov_b32_e32 v0, s62
	v_lshl_add_u32 v11, s33, 12, v10
	v_mov_b32_e32 v8, 0x7c
	s_mov_b32 s63, exec_lo
	ds_load_2addr_b64 v[12:15], v0 offset0:12 offset1:13
	ds_load_b64 v[16:17], v0 offset:112
	global_store_b32 v11, v9, s[34:35] scale_offset
	s_wait_dscnt 0x1
	v_mul_f64_e32 v[0:1], v[4:5], v[14:15]
	s_delay_alu instid0(VALU_DEP_1) | instskip(SKIP_1) | instid1(VALU_DEP_1)
	v_fmac_f64_e32 v[0:1], v[2:3], v[12:13]
	s_wait_dscnt 0x0
	v_fmac_f64_e32 v[0:1], v[6:7], v[16:17]
	s_wait_xcnt 0x0
	s_delay_alu instid0(VALU_DEP_1)
	v_cmpx_ngt_f64_e32 s[60:61], v[0:1]
	s_cbranch_execz .LBB0_7572
; %bb.7511:                             ;   in Loop: Header=BB0_7082 Depth=1
	v_mov_b32_e32 v8, 0x78
	s_mov_b32 s68, exec_lo
	v_cmpx_ngt_f64_e32 s[66:67], v[0:1]
	s_cbranch_execz .LBB0_7571
; %bb.7512:                             ;   in Loop: Header=BB0_7082 Depth=1
	v_mov_b32_e32 v8, 0x74
	s_mov_b32 s69, exec_lo
	;; [unrolled: 5-line block ×30, first 2 shown]
	v_cmpx_gt_f64_e32 s[36:37], v[0:1]
; %bb.7541:                             ;   in Loop: Header=BB0_7082 Depth=1
	v_mov_b32_e32 v8, 4
; %bb.7542:                             ;   in Loop: Header=BB0_7082 Depth=1
	s_or_b32 exec_lo, exec_lo, s97
.LBB0_7543:                             ;   in Loop: Header=BB0_7082 Depth=1
	s_delay_alu instid0(SALU_CYCLE_1)
	s_or_b32 exec_lo, exec_lo, s96
.LBB0_7544:                             ;   in Loop: Header=BB0_7082 Depth=1
	s_delay_alu instid0(SALU_CYCLE_1)
	s_or_b32 exec_lo, exec_lo, s95
.LBB0_7545:                             ;   in Loop: Header=BB0_7082 Depth=1
	s_delay_alu instid0(SALU_CYCLE_1)
	s_or_b32 exec_lo, exec_lo, s94
.LBB0_7546:                             ;   in Loop: Header=BB0_7082 Depth=1
	s_delay_alu instid0(SALU_CYCLE_1)
	s_or_b32 exec_lo, exec_lo, s93
.LBB0_7547:                             ;   in Loop: Header=BB0_7082 Depth=1
	s_delay_alu instid0(SALU_CYCLE_1)
	s_or_b32 exec_lo, exec_lo, s92
.LBB0_7548:                             ;   in Loop: Header=BB0_7082 Depth=1
	s_delay_alu instid0(SALU_CYCLE_1)
	s_or_b32 exec_lo, exec_lo, s91
.LBB0_7549:                             ;   in Loop: Header=BB0_7082 Depth=1
	s_delay_alu instid0(SALU_CYCLE_1)
	s_or_b32 exec_lo, exec_lo, s90
.LBB0_7550:                             ;   in Loop: Header=BB0_7082 Depth=1
	s_delay_alu instid0(SALU_CYCLE_1)
	s_or_b32 exec_lo, exec_lo, s89
.LBB0_7551:                             ;   in Loop: Header=BB0_7082 Depth=1
	s_delay_alu instid0(SALU_CYCLE_1)
	s_or_b32 exec_lo, exec_lo, s88
.LBB0_7552:                             ;   in Loop: Header=BB0_7082 Depth=1
	s_delay_alu instid0(SALU_CYCLE_1)
	s_or_b32 exec_lo, exec_lo, s87
.LBB0_7553:                             ;   in Loop: Header=BB0_7082 Depth=1
	s_delay_alu instid0(SALU_CYCLE_1)
	s_or_b32 exec_lo, exec_lo, s86
.LBB0_7554:                             ;   in Loop: Header=BB0_7082 Depth=1
	s_delay_alu instid0(SALU_CYCLE_1)
	s_or_b32 exec_lo, exec_lo, s85
.LBB0_7555:                             ;   in Loop: Header=BB0_7082 Depth=1
	s_delay_alu instid0(SALU_CYCLE_1)
	s_or_b32 exec_lo, exec_lo, s84
.LBB0_7556:                             ;   in Loop: Header=BB0_7082 Depth=1
	s_delay_alu instid0(SALU_CYCLE_1)
	s_or_b32 exec_lo, exec_lo, s83
.LBB0_7557:                             ;   in Loop: Header=BB0_7082 Depth=1
	s_delay_alu instid0(SALU_CYCLE_1)
	s_or_b32 exec_lo, exec_lo, s82
.LBB0_7558:                             ;   in Loop: Header=BB0_7082 Depth=1
	s_delay_alu instid0(SALU_CYCLE_1)
	s_or_b32 exec_lo, exec_lo, s81
.LBB0_7559:                             ;   in Loop: Header=BB0_7082 Depth=1
	s_delay_alu instid0(SALU_CYCLE_1)
	s_or_b32 exec_lo, exec_lo, s80
.LBB0_7560:                             ;   in Loop: Header=BB0_7082 Depth=1
	s_delay_alu instid0(SALU_CYCLE_1)
	s_or_b32 exec_lo, exec_lo, s79
.LBB0_7561:                             ;   in Loop: Header=BB0_7082 Depth=1
	s_delay_alu instid0(SALU_CYCLE_1)
	s_or_b32 exec_lo, exec_lo, s78
.LBB0_7562:                             ;   in Loop: Header=BB0_7082 Depth=1
	s_delay_alu instid0(SALU_CYCLE_1)
	s_or_b32 exec_lo, exec_lo, s77
.LBB0_7563:                             ;   in Loop: Header=BB0_7082 Depth=1
	s_delay_alu instid0(SALU_CYCLE_1)
	s_or_b32 exec_lo, exec_lo, s76
.LBB0_7564:                             ;   in Loop: Header=BB0_7082 Depth=1
	s_delay_alu instid0(SALU_CYCLE_1)
	s_or_b32 exec_lo, exec_lo, s75
.LBB0_7565:                             ;   in Loop: Header=BB0_7082 Depth=1
	s_delay_alu instid0(SALU_CYCLE_1)
	s_or_b32 exec_lo, exec_lo, s74
.LBB0_7566:                             ;   in Loop: Header=BB0_7082 Depth=1
	s_delay_alu instid0(SALU_CYCLE_1)
	s_or_b32 exec_lo, exec_lo, s73
.LBB0_7567:                             ;   in Loop: Header=BB0_7082 Depth=1
	s_delay_alu instid0(SALU_CYCLE_1)
	s_or_b32 exec_lo, exec_lo, s72
.LBB0_7568:                             ;   in Loop: Header=BB0_7082 Depth=1
	s_delay_alu instid0(SALU_CYCLE_1)
	s_or_b32 exec_lo, exec_lo, s71
.LBB0_7569:                             ;   in Loop: Header=BB0_7082 Depth=1
	s_delay_alu instid0(SALU_CYCLE_1)
	s_or_b32 exec_lo, exec_lo, s70
.LBB0_7570:                             ;   in Loop: Header=BB0_7082 Depth=1
	s_delay_alu instid0(SALU_CYCLE_1)
	s_or_b32 exec_lo, exec_lo, s69
.LBB0_7571:                             ;   in Loop: Header=BB0_7082 Depth=1
	s_delay_alu instid0(SALU_CYCLE_1)
	s_or_b32 exec_lo, exec_lo, s68
.LBB0_7572:                             ;   in Loop: Header=BB0_7082 Depth=1
	s_delay_alu instid0(SALU_CYCLE_1)
	s_or_b32 exec_lo, exec_lo, s63
	v_mov_b32_e32 v0, s62
	s_mov_b32 s63, exec_lo
	ds_load_2addr_b64 v[12:15], v0 offset0:15 offset1:16
	ds_load_b64 v[16:17], v0 offset:136
	s_wait_dscnt 0x1
	v_mul_f64_e32 v[0:1], v[4:5], v[14:15]
	s_delay_alu instid0(VALU_DEP_1) | instskip(SKIP_1) | instid1(VALU_DEP_1)
	v_fmac_f64_e32 v[0:1], v[2:3], v[12:13]
	s_wait_dscnt 0x0
	v_fmac_f64_e32 v[0:1], v[6:7], v[16:17]
	s_delay_alu instid0(VALU_DEP_1)
	v_cmpx_ngt_f64_e32 s[60:61], v[0:1]
	s_xor_b32 s63, exec_lo, s63
	s_cbranch_execz .LBB0_7692
; %bb.7573:                             ;   in Loop: Header=BB0_7082 Depth=1
	s_mov_b32 s68, exec_lo
	v_cmpx_ngt_f64_e32 s[66:67], v[0:1]
	s_xor_b32 s68, exec_lo, s68
	s_cbranch_execz .LBB0_7689
; %bb.7574:                             ;   in Loop: Header=BB0_7082 Depth=1
	s_mov_b32 s69, exec_lo
	;; [unrolled: 5-line block ×30, first 2 shown]
	v_cmpx_gt_f64_e32 s[36:37], v[0:1]
; %bb.7603:                             ;   in Loop: Header=BB0_7082 Depth=1
	v_or_b32_e32 v8, 0x400, v8
; %bb.7604:                             ;   in Loop: Header=BB0_7082 Depth=1
	s_or_b32 exec_lo, exec_lo, s97
.LBB0_7605:                             ;   in Loop: Header=BB0_7082 Depth=1
	s_and_not1_saveexec_b32 s96, s96
; %bb.7606:                             ;   in Loop: Header=BB0_7082 Depth=1
	s_delay_alu instid0(VALU_DEP_1)
	v_or_b32_e32 v8, 0x800, v8
; %bb.7607:                             ;   in Loop: Header=BB0_7082 Depth=1
	s_or_b32 exec_lo, exec_lo, s96
.LBB0_7608:                             ;   in Loop: Header=BB0_7082 Depth=1
	s_and_not1_saveexec_b32 s95, s95
; %bb.7609:                             ;   in Loop: Header=BB0_7082 Depth=1
	s_delay_alu instid0(VALU_DEP_1)
	v_or_b32_e32 v8, 0xc00, v8
; %bb.7610:                             ;   in Loop: Header=BB0_7082 Depth=1
	s_or_b32 exec_lo, exec_lo, s95
.LBB0_7611:                             ;   in Loop: Header=BB0_7082 Depth=1
	s_and_not1_saveexec_b32 s94, s94
; %bb.7612:                             ;   in Loop: Header=BB0_7082 Depth=1
	s_delay_alu instid0(VALU_DEP_1)
	v_or_b32_e32 v8, 0x1000, v8
; %bb.7613:                             ;   in Loop: Header=BB0_7082 Depth=1
	s_or_b32 exec_lo, exec_lo, s94
.LBB0_7614:                             ;   in Loop: Header=BB0_7082 Depth=1
	s_and_not1_saveexec_b32 s93, s93
; %bb.7615:                             ;   in Loop: Header=BB0_7082 Depth=1
	s_delay_alu instid0(VALU_DEP_1)
	v_or_b32_e32 v8, 0x1400, v8
; %bb.7616:                             ;   in Loop: Header=BB0_7082 Depth=1
	s_or_b32 exec_lo, exec_lo, s93
.LBB0_7617:                             ;   in Loop: Header=BB0_7082 Depth=1
	s_and_not1_saveexec_b32 s92, s92
; %bb.7618:                             ;   in Loop: Header=BB0_7082 Depth=1
	s_delay_alu instid0(VALU_DEP_1)
	v_or_b32_e32 v8, 0x1800, v8
; %bb.7619:                             ;   in Loop: Header=BB0_7082 Depth=1
	s_or_b32 exec_lo, exec_lo, s92
.LBB0_7620:                             ;   in Loop: Header=BB0_7082 Depth=1
	s_and_not1_saveexec_b32 s91, s91
; %bb.7621:                             ;   in Loop: Header=BB0_7082 Depth=1
	s_delay_alu instid0(VALU_DEP_1)
	v_or_b32_e32 v8, 0x1c00, v8
; %bb.7622:                             ;   in Loop: Header=BB0_7082 Depth=1
	s_or_b32 exec_lo, exec_lo, s91
.LBB0_7623:                             ;   in Loop: Header=BB0_7082 Depth=1
	s_and_not1_saveexec_b32 s90, s90
; %bb.7624:                             ;   in Loop: Header=BB0_7082 Depth=1
	s_delay_alu instid0(VALU_DEP_1)
	v_or_b32_e32 v8, 0x2000, v8
; %bb.7625:                             ;   in Loop: Header=BB0_7082 Depth=1
	s_or_b32 exec_lo, exec_lo, s90
.LBB0_7626:                             ;   in Loop: Header=BB0_7082 Depth=1
	s_and_not1_saveexec_b32 s89, s89
; %bb.7627:                             ;   in Loop: Header=BB0_7082 Depth=1
	s_delay_alu instid0(VALU_DEP_1)
	v_or_b32_e32 v8, 0x2400, v8
; %bb.7628:                             ;   in Loop: Header=BB0_7082 Depth=1
	s_or_b32 exec_lo, exec_lo, s89
.LBB0_7629:                             ;   in Loop: Header=BB0_7082 Depth=1
	s_and_not1_saveexec_b32 s88, s88
; %bb.7630:                             ;   in Loop: Header=BB0_7082 Depth=1
	s_delay_alu instid0(VALU_DEP_1)
	v_or_b32_e32 v8, 0x2800, v8
; %bb.7631:                             ;   in Loop: Header=BB0_7082 Depth=1
	s_or_b32 exec_lo, exec_lo, s88
.LBB0_7632:                             ;   in Loop: Header=BB0_7082 Depth=1
	s_and_not1_saveexec_b32 s87, s87
; %bb.7633:                             ;   in Loop: Header=BB0_7082 Depth=1
	s_delay_alu instid0(VALU_DEP_1)
	v_or_b32_e32 v8, 0x2c00, v8
; %bb.7634:                             ;   in Loop: Header=BB0_7082 Depth=1
	s_or_b32 exec_lo, exec_lo, s87
.LBB0_7635:                             ;   in Loop: Header=BB0_7082 Depth=1
	s_and_not1_saveexec_b32 s86, s86
; %bb.7636:                             ;   in Loop: Header=BB0_7082 Depth=1
	s_delay_alu instid0(VALU_DEP_1)
	v_or_b32_e32 v8, 0x3000, v8
; %bb.7637:                             ;   in Loop: Header=BB0_7082 Depth=1
	s_or_b32 exec_lo, exec_lo, s86
.LBB0_7638:                             ;   in Loop: Header=BB0_7082 Depth=1
	s_and_not1_saveexec_b32 s85, s85
; %bb.7639:                             ;   in Loop: Header=BB0_7082 Depth=1
	s_delay_alu instid0(VALU_DEP_1)
	v_or_b32_e32 v8, 0x3400, v8
; %bb.7640:                             ;   in Loop: Header=BB0_7082 Depth=1
	s_or_b32 exec_lo, exec_lo, s85
.LBB0_7641:                             ;   in Loop: Header=BB0_7082 Depth=1
	s_and_not1_saveexec_b32 s84, s84
; %bb.7642:                             ;   in Loop: Header=BB0_7082 Depth=1
	s_delay_alu instid0(VALU_DEP_1)
	v_or_b32_e32 v8, 0x3800, v8
; %bb.7643:                             ;   in Loop: Header=BB0_7082 Depth=1
	s_or_b32 exec_lo, exec_lo, s84
.LBB0_7644:                             ;   in Loop: Header=BB0_7082 Depth=1
	s_and_not1_saveexec_b32 s83, s83
; %bb.7645:                             ;   in Loop: Header=BB0_7082 Depth=1
	s_delay_alu instid0(VALU_DEP_1)
	v_or_b32_e32 v8, 0x3c00, v8
; %bb.7646:                             ;   in Loop: Header=BB0_7082 Depth=1
	s_or_b32 exec_lo, exec_lo, s83
.LBB0_7647:                             ;   in Loop: Header=BB0_7082 Depth=1
	s_and_not1_saveexec_b32 s82, s82
; %bb.7648:                             ;   in Loop: Header=BB0_7082 Depth=1
	s_delay_alu instid0(VALU_DEP_1)
	v_or_b32_e32 v8, 0x4000, v8
; %bb.7649:                             ;   in Loop: Header=BB0_7082 Depth=1
	s_or_b32 exec_lo, exec_lo, s82
.LBB0_7650:                             ;   in Loop: Header=BB0_7082 Depth=1
	s_and_not1_saveexec_b32 s81, s81
; %bb.7651:                             ;   in Loop: Header=BB0_7082 Depth=1
	s_delay_alu instid0(VALU_DEP_1)
	v_or_b32_e32 v8, 0x4400, v8
; %bb.7652:                             ;   in Loop: Header=BB0_7082 Depth=1
	s_or_b32 exec_lo, exec_lo, s81
.LBB0_7653:                             ;   in Loop: Header=BB0_7082 Depth=1
	s_and_not1_saveexec_b32 s80, s80
; %bb.7654:                             ;   in Loop: Header=BB0_7082 Depth=1
	s_delay_alu instid0(VALU_DEP_1)
	v_or_b32_e32 v8, 0x4800, v8
; %bb.7655:                             ;   in Loop: Header=BB0_7082 Depth=1
	s_or_b32 exec_lo, exec_lo, s80
.LBB0_7656:                             ;   in Loop: Header=BB0_7082 Depth=1
	s_and_not1_saveexec_b32 s79, s79
; %bb.7657:                             ;   in Loop: Header=BB0_7082 Depth=1
	s_delay_alu instid0(VALU_DEP_1)
	v_or_b32_e32 v8, 0x4c00, v8
; %bb.7658:                             ;   in Loop: Header=BB0_7082 Depth=1
	s_or_b32 exec_lo, exec_lo, s79
.LBB0_7659:                             ;   in Loop: Header=BB0_7082 Depth=1
	s_and_not1_saveexec_b32 s78, s78
; %bb.7660:                             ;   in Loop: Header=BB0_7082 Depth=1
	s_delay_alu instid0(VALU_DEP_1)
	v_or_b32_e32 v8, 0x5000, v8
; %bb.7661:                             ;   in Loop: Header=BB0_7082 Depth=1
	s_or_b32 exec_lo, exec_lo, s78
.LBB0_7662:                             ;   in Loop: Header=BB0_7082 Depth=1
	s_and_not1_saveexec_b32 s77, s77
; %bb.7663:                             ;   in Loop: Header=BB0_7082 Depth=1
	s_delay_alu instid0(VALU_DEP_1)
	v_or_b32_e32 v8, 0x5400, v8
; %bb.7664:                             ;   in Loop: Header=BB0_7082 Depth=1
	s_or_b32 exec_lo, exec_lo, s77
.LBB0_7665:                             ;   in Loop: Header=BB0_7082 Depth=1
	s_and_not1_saveexec_b32 s76, s76
; %bb.7666:                             ;   in Loop: Header=BB0_7082 Depth=1
	s_delay_alu instid0(VALU_DEP_1)
	v_or_b32_e32 v8, 0x5800, v8
; %bb.7667:                             ;   in Loop: Header=BB0_7082 Depth=1
	s_or_b32 exec_lo, exec_lo, s76
.LBB0_7668:                             ;   in Loop: Header=BB0_7082 Depth=1
	s_and_not1_saveexec_b32 s75, s75
; %bb.7669:                             ;   in Loop: Header=BB0_7082 Depth=1
	s_delay_alu instid0(VALU_DEP_1)
	v_or_b32_e32 v8, 0x5c00, v8
; %bb.7670:                             ;   in Loop: Header=BB0_7082 Depth=1
	s_or_b32 exec_lo, exec_lo, s75
.LBB0_7671:                             ;   in Loop: Header=BB0_7082 Depth=1
	s_and_not1_saveexec_b32 s74, s74
; %bb.7672:                             ;   in Loop: Header=BB0_7082 Depth=1
	s_delay_alu instid0(VALU_DEP_1)
	v_or_b32_e32 v8, 0x6000, v8
; %bb.7673:                             ;   in Loop: Header=BB0_7082 Depth=1
	s_or_b32 exec_lo, exec_lo, s74
.LBB0_7674:                             ;   in Loop: Header=BB0_7082 Depth=1
	s_and_not1_saveexec_b32 s73, s73
; %bb.7675:                             ;   in Loop: Header=BB0_7082 Depth=1
	s_delay_alu instid0(VALU_DEP_1)
	v_or_b32_e32 v8, 0x6400, v8
; %bb.7676:                             ;   in Loop: Header=BB0_7082 Depth=1
	s_or_b32 exec_lo, exec_lo, s73
.LBB0_7677:                             ;   in Loop: Header=BB0_7082 Depth=1
	s_and_not1_saveexec_b32 s72, s72
; %bb.7678:                             ;   in Loop: Header=BB0_7082 Depth=1
	s_delay_alu instid0(VALU_DEP_1)
	v_or_b32_e32 v8, 0x6800, v8
; %bb.7679:                             ;   in Loop: Header=BB0_7082 Depth=1
	s_or_b32 exec_lo, exec_lo, s72
.LBB0_7680:                             ;   in Loop: Header=BB0_7082 Depth=1
	s_and_not1_saveexec_b32 s71, s71
; %bb.7681:                             ;   in Loop: Header=BB0_7082 Depth=1
	s_delay_alu instid0(VALU_DEP_1)
	v_or_b32_e32 v8, 0x6c00, v8
; %bb.7682:                             ;   in Loop: Header=BB0_7082 Depth=1
	s_or_b32 exec_lo, exec_lo, s71
.LBB0_7683:                             ;   in Loop: Header=BB0_7082 Depth=1
	s_and_not1_saveexec_b32 s70, s70
; %bb.7684:                             ;   in Loop: Header=BB0_7082 Depth=1
	s_delay_alu instid0(VALU_DEP_1)
	v_or_b32_e32 v8, 0x7000, v8
; %bb.7685:                             ;   in Loop: Header=BB0_7082 Depth=1
	s_or_b32 exec_lo, exec_lo, s70
.LBB0_7686:                             ;   in Loop: Header=BB0_7082 Depth=1
	s_and_not1_saveexec_b32 s69, s69
; %bb.7687:                             ;   in Loop: Header=BB0_7082 Depth=1
	s_delay_alu instid0(VALU_DEP_1)
	v_or_b32_e32 v8, 0x7400, v8
; %bb.7688:                             ;   in Loop: Header=BB0_7082 Depth=1
	s_or_b32 exec_lo, exec_lo, s69
.LBB0_7689:                             ;   in Loop: Header=BB0_7082 Depth=1
	s_and_not1_saveexec_b32 s68, s68
; %bb.7690:                             ;   in Loop: Header=BB0_7082 Depth=1
	s_delay_alu instid0(VALU_DEP_1)
	v_or_b32_e32 v8, 0x7800, v8
; %bb.7691:                             ;   in Loop: Header=BB0_7082 Depth=1
	s_or_b32 exec_lo, exec_lo, s68
.LBB0_7692:                             ;   in Loop: Header=BB0_7082 Depth=1
	s_and_not1_saveexec_b32 s63, s63
; %bb.7693:                             ;   in Loop: Header=BB0_7082 Depth=1
	s_delay_alu instid0(VALU_DEP_1)
	v_or_b32_e32 v8, 0x7c00, v8
; %bb.7694:                             ;   in Loop: Header=BB0_7082 Depth=1
	s_or_b32 exec_lo, exec_lo, s63
	v_mov_b32_e32 v0, s62
	s_mov_b32 s63, exec_lo
	ds_load_2addr_b64 v[12:15], v0 offset0:18 offset1:19
	ds_load_b64 v[16:17], v0 offset:160
	s_wait_dscnt 0x1
	v_mul_f64_e32 v[0:1], v[4:5], v[14:15]
	s_delay_alu instid0(VALU_DEP_1) | instskip(SKIP_1) | instid1(VALU_DEP_1)
	v_fmac_f64_e32 v[0:1], v[2:3], v[12:13]
	s_wait_dscnt 0x0
	v_fmac_f64_e32 v[0:1], v[6:7], v[16:17]
	s_delay_alu instid0(VALU_DEP_1)
	v_cmpx_ngt_f64_e32 s[60:61], v[0:1]
	s_xor_b32 s63, exec_lo, s63
	s_cbranch_execz .LBB0_7814
; %bb.7695:                             ;   in Loop: Header=BB0_7082 Depth=1
	s_mov_b32 s68, exec_lo
	v_cmpx_ngt_f64_e32 s[66:67], v[0:1]
	s_xor_b32 s68, exec_lo, s68
	s_cbranch_execz .LBB0_7811
; %bb.7696:                             ;   in Loop: Header=BB0_7082 Depth=1
	s_mov_b32 s69, exec_lo
	;; [unrolled: 5-line block ×30, first 2 shown]
	v_cmpx_gt_f64_e32 s[36:37], v[0:1]
; %bb.7725:                             ;   in Loop: Header=BB0_7082 Depth=1
	v_add_nc_u32_e32 v8, 0x40000, v8
; %bb.7726:                             ;   in Loop: Header=BB0_7082 Depth=1
	s_or_b32 exec_lo, exec_lo, s97
.LBB0_7727:                             ;   in Loop: Header=BB0_7082 Depth=1
	s_and_not1_saveexec_b32 s96, s96
; %bb.7728:                             ;   in Loop: Header=BB0_7082 Depth=1
	s_delay_alu instid0(VALU_DEP_1)
	v_add_nc_u32_e32 v8, 0x80000, v8
; %bb.7729:                             ;   in Loop: Header=BB0_7082 Depth=1
	s_or_b32 exec_lo, exec_lo, s96
.LBB0_7730:                             ;   in Loop: Header=BB0_7082 Depth=1
	s_and_not1_saveexec_b32 s95, s95
; %bb.7731:                             ;   in Loop: Header=BB0_7082 Depth=1
	s_delay_alu instid0(VALU_DEP_1)
	v_add_nc_u32_e32 v8, 0xc0000, v8
; %bb.7732:                             ;   in Loop: Header=BB0_7082 Depth=1
	s_or_b32 exec_lo, exec_lo, s95
.LBB0_7733:                             ;   in Loop: Header=BB0_7082 Depth=1
	s_and_not1_saveexec_b32 s94, s94
; %bb.7734:                             ;   in Loop: Header=BB0_7082 Depth=1
	s_delay_alu instid0(VALU_DEP_1)
	v_add_nc_u32_e32 v8, 0x100000, v8
; %bb.7735:                             ;   in Loop: Header=BB0_7082 Depth=1
	s_or_b32 exec_lo, exec_lo, s94
.LBB0_7736:                             ;   in Loop: Header=BB0_7082 Depth=1
	s_and_not1_saveexec_b32 s93, s93
; %bb.7737:                             ;   in Loop: Header=BB0_7082 Depth=1
	s_delay_alu instid0(VALU_DEP_1)
	v_add_nc_u32_e32 v8, 0x140000, v8
; %bb.7738:                             ;   in Loop: Header=BB0_7082 Depth=1
	s_or_b32 exec_lo, exec_lo, s93
.LBB0_7739:                             ;   in Loop: Header=BB0_7082 Depth=1
	s_and_not1_saveexec_b32 s92, s92
; %bb.7740:                             ;   in Loop: Header=BB0_7082 Depth=1
	s_delay_alu instid0(VALU_DEP_1)
	v_add_nc_u32_e32 v8, 0x180000, v8
; %bb.7741:                             ;   in Loop: Header=BB0_7082 Depth=1
	s_or_b32 exec_lo, exec_lo, s92
.LBB0_7742:                             ;   in Loop: Header=BB0_7082 Depth=1
	s_and_not1_saveexec_b32 s91, s91
; %bb.7743:                             ;   in Loop: Header=BB0_7082 Depth=1
	s_delay_alu instid0(VALU_DEP_1)
	v_add_nc_u32_e32 v8, 0x1c0000, v8
; %bb.7744:                             ;   in Loop: Header=BB0_7082 Depth=1
	s_or_b32 exec_lo, exec_lo, s91
.LBB0_7745:                             ;   in Loop: Header=BB0_7082 Depth=1
	s_and_not1_saveexec_b32 s90, s90
; %bb.7746:                             ;   in Loop: Header=BB0_7082 Depth=1
	s_delay_alu instid0(VALU_DEP_1)
	v_add_nc_u32_e32 v8, 0x200000, v8
; %bb.7747:                             ;   in Loop: Header=BB0_7082 Depth=1
	s_or_b32 exec_lo, exec_lo, s90
.LBB0_7748:                             ;   in Loop: Header=BB0_7082 Depth=1
	s_and_not1_saveexec_b32 s89, s89
; %bb.7749:                             ;   in Loop: Header=BB0_7082 Depth=1
	s_delay_alu instid0(VALU_DEP_1)
	v_add_nc_u32_e32 v8, 0x240000, v8
; %bb.7750:                             ;   in Loop: Header=BB0_7082 Depth=1
	s_or_b32 exec_lo, exec_lo, s89
.LBB0_7751:                             ;   in Loop: Header=BB0_7082 Depth=1
	s_and_not1_saveexec_b32 s88, s88
; %bb.7752:                             ;   in Loop: Header=BB0_7082 Depth=1
	s_delay_alu instid0(VALU_DEP_1)
	v_add_nc_u32_e32 v8, 0x280000, v8
; %bb.7753:                             ;   in Loop: Header=BB0_7082 Depth=1
	s_or_b32 exec_lo, exec_lo, s88
.LBB0_7754:                             ;   in Loop: Header=BB0_7082 Depth=1
	s_and_not1_saveexec_b32 s87, s87
; %bb.7755:                             ;   in Loop: Header=BB0_7082 Depth=1
	s_delay_alu instid0(VALU_DEP_1)
	v_add_nc_u32_e32 v8, 0x2c0000, v8
; %bb.7756:                             ;   in Loop: Header=BB0_7082 Depth=1
	s_or_b32 exec_lo, exec_lo, s87
.LBB0_7757:                             ;   in Loop: Header=BB0_7082 Depth=1
	s_and_not1_saveexec_b32 s86, s86
; %bb.7758:                             ;   in Loop: Header=BB0_7082 Depth=1
	s_delay_alu instid0(VALU_DEP_1)
	v_add_nc_u32_e32 v8, 0x300000, v8
; %bb.7759:                             ;   in Loop: Header=BB0_7082 Depth=1
	s_or_b32 exec_lo, exec_lo, s86
.LBB0_7760:                             ;   in Loop: Header=BB0_7082 Depth=1
	s_and_not1_saveexec_b32 s85, s85
; %bb.7761:                             ;   in Loop: Header=BB0_7082 Depth=1
	s_delay_alu instid0(VALU_DEP_1)
	v_add_nc_u32_e32 v8, 0x340000, v8
; %bb.7762:                             ;   in Loop: Header=BB0_7082 Depth=1
	s_or_b32 exec_lo, exec_lo, s85
.LBB0_7763:                             ;   in Loop: Header=BB0_7082 Depth=1
	s_and_not1_saveexec_b32 s84, s84
; %bb.7764:                             ;   in Loop: Header=BB0_7082 Depth=1
	s_delay_alu instid0(VALU_DEP_1)
	v_add_nc_u32_e32 v8, 0x380000, v8
; %bb.7765:                             ;   in Loop: Header=BB0_7082 Depth=1
	s_or_b32 exec_lo, exec_lo, s84
.LBB0_7766:                             ;   in Loop: Header=BB0_7082 Depth=1
	s_and_not1_saveexec_b32 s83, s83
; %bb.7767:                             ;   in Loop: Header=BB0_7082 Depth=1
	s_delay_alu instid0(VALU_DEP_1)
	v_add_nc_u32_e32 v8, 0x3c0000, v8
; %bb.7768:                             ;   in Loop: Header=BB0_7082 Depth=1
	s_or_b32 exec_lo, exec_lo, s83
.LBB0_7769:                             ;   in Loop: Header=BB0_7082 Depth=1
	s_and_not1_saveexec_b32 s82, s82
; %bb.7770:                             ;   in Loop: Header=BB0_7082 Depth=1
	s_delay_alu instid0(VALU_DEP_1)
	v_add_nc_u32_e32 v8, 0x400000, v8
; %bb.7771:                             ;   in Loop: Header=BB0_7082 Depth=1
	s_or_b32 exec_lo, exec_lo, s82
.LBB0_7772:                             ;   in Loop: Header=BB0_7082 Depth=1
	s_and_not1_saveexec_b32 s81, s81
; %bb.7773:                             ;   in Loop: Header=BB0_7082 Depth=1
	s_delay_alu instid0(VALU_DEP_1)
	v_add_nc_u32_e32 v8, 0x440000, v8
; %bb.7774:                             ;   in Loop: Header=BB0_7082 Depth=1
	s_or_b32 exec_lo, exec_lo, s81
.LBB0_7775:                             ;   in Loop: Header=BB0_7082 Depth=1
	s_and_not1_saveexec_b32 s80, s80
; %bb.7776:                             ;   in Loop: Header=BB0_7082 Depth=1
	s_delay_alu instid0(VALU_DEP_1)
	v_add_nc_u32_e32 v8, 0x480000, v8
; %bb.7777:                             ;   in Loop: Header=BB0_7082 Depth=1
	s_or_b32 exec_lo, exec_lo, s80
.LBB0_7778:                             ;   in Loop: Header=BB0_7082 Depth=1
	s_and_not1_saveexec_b32 s79, s79
; %bb.7779:                             ;   in Loop: Header=BB0_7082 Depth=1
	s_delay_alu instid0(VALU_DEP_1)
	v_add_nc_u32_e32 v8, 0x4c0000, v8
; %bb.7780:                             ;   in Loop: Header=BB0_7082 Depth=1
	s_or_b32 exec_lo, exec_lo, s79
.LBB0_7781:                             ;   in Loop: Header=BB0_7082 Depth=1
	s_and_not1_saveexec_b32 s78, s78
; %bb.7782:                             ;   in Loop: Header=BB0_7082 Depth=1
	s_delay_alu instid0(VALU_DEP_1)
	v_add_nc_u32_e32 v8, 0x500000, v8
; %bb.7783:                             ;   in Loop: Header=BB0_7082 Depth=1
	s_or_b32 exec_lo, exec_lo, s78
.LBB0_7784:                             ;   in Loop: Header=BB0_7082 Depth=1
	s_and_not1_saveexec_b32 s77, s77
; %bb.7785:                             ;   in Loop: Header=BB0_7082 Depth=1
	s_delay_alu instid0(VALU_DEP_1)
	v_add_nc_u32_e32 v8, 0x540000, v8
; %bb.7786:                             ;   in Loop: Header=BB0_7082 Depth=1
	s_or_b32 exec_lo, exec_lo, s77
.LBB0_7787:                             ;   in Loop: Header=BB0_7082 Depth=1
	s_and_not1_saveexec_b32 s76, s76
; %bb.7788:                             ;   in Loop: Header=BB0_7082 Depth=1
	s_delay_alu instid0(VALU_DEP_1)
	v_add_nc_u32_e32 v8, 0x580000, v8
; %bb.7789:                             ;   in Loop: Header=BB0_7082 Depth=1
	s_or_b32 exec_lo, exec_lo, s76
.LBB0_7790:                             ;   in Loop: Header=BB0_7082 Depth=1
	s_and_not1_saveexec_b32 s75, s75
; %bb.7791:                             ;   in Loop: Header=BB0_7082 Depth=1
	s_delay_alu instid0(VALU_DEP_1)
	v_add_nc_u32_e32 v8, 0x5c0000, v8
; %bb.7792:                             ;   in Loop: Header=BB0_7082 Depth=1
	s_or_b32 exec_lo, exec_lo, s75
.LBB0_7793:                             ;   in Loop: Header=BB0_7082 Depth=1
	s_and_not1_saveexec_b32 s74, s74
; %bb.7794:                             ;   in Loop: Header=BB0_7082 Depth=1
	s_delay_alu instid0(VALU_DEP_1)
	v_add_nc_u32_e32 v8, 0x600000, v8
; %bb.7795:                             ;   in Loop: Header=BB0_7082 Depth=1
	s_or_b32 exec_lo, exec_lo, s74
.LBB0_7796:                             ;   in Loop: Header=BB0_7082 Depth=1
	s_and_not1_saveexec_b32 s73, s73
; %bb.7797:                             ;   in Loop: Header=BB0_7082 Depth=1
	s_delay_alu instid0(VALU_DEP_1)
	v_add_nc_u32_e32 v8, 0x640000, v8
; %bb.7798:                             ;   in Loop: Header=BB0_7082 Depth=1
	s_or_b32 exec_lo, exec_lo, s73
.LBB0_7799:                             ;   in Loop: Header=BB0_7082 Depth=1
	s_and_not1_saveexec_b32 s72, s72
; %bb.7800:                             ;   in Loop: Header=BB0_7082 Depth=1
	s_delay_alu instid0(VALU_DEP_1)
	v_add_nc_u32_e32 v8, 0x680000, v8
; %bb.7801:                             ;   in Loop: Header=BB0_7082 Depth=1
	s_or_b32 exec_lo, exec_lo, s72
.LBB0_7802:                             ;   in Loop: Header=BB0_7082 Depth=1
	s_and_not1_saveexec_b32 s71, s71
; %bb.7803:                             ;   in Loop: Header=BB0_7082 Depth=1
	s_delay_alu instid0(VALU_DEP_1)
	v_add_nc_u32_e32 v8, 0x6c0000, v8
; %bb.7804:                             ;   in Loop: Header=BB0_7082 Depth=1
	s_or_b32 exec_lo, exec_lo, s71
.LBB0_7805:                             ;   in Loop: Header=BB0_7082 Depth=1
	s_and_not1_saveexec_b32 s70, s70
; %bb.7806:                             ;   in Loop: Header=BB0_7082 Depth=1
	s_delay_alu instid0(VALU_DEP_1)
	v_add_nc_u32_e32 v8, 0x700000, v8
; %bb.7807:                             ;   in Loop: Header=BB0_7082 Depth=1
	s_or_b32 exec_lo, exec_lo, s70
.LBB0_7808:                             ;   in Loop: Header=BB0_7082 Depth=1
	s_and_not1_saveexec_b32 s69, s69
; %bb.7809:                             ;   in Loop: Header=BB0_7082 Depth=1
	s_delay_alu instid0(VALU_DEP_1)
	v_add_nc_u32_e32 v8, 0x740000, v8
; %bb.7810:                             ;   in Loop: Header=BB0_7082 Depth=1
	s_or_b32 exec_lo, exec_lo, s69
.LBB0_7811:                             ;   in Loop: Header=BB0_7082 Depth=1
	s_and_not1_saveexec_b32 s68, s68
; %bb.7812:                             ;   in Loop: Header=BB0_7082 Depth=1
	s_delay_alu instid0(VALU_DEP_1)
	v_add_nc_u32_e32 v8, 0x780000, v8
; %bb.7813:                             ;   in Loop: Header=BB0_7082 Depth=1
	s_or_b32 exec_lo, exec_lo, s68
.LBB0_7814:                             ;   in Loop: Header=BB0_7082 Depth=1
	s_and_not1_saveexec_b32 s63, s63
; %bb.7815:                             ;   in Loop: Header=BB0_7082 Depth=1
	s_delay_alu instid0(VALU_DEP_1)
	v_add_nc_u32_e32 v8, 0x7c0000, v8
; %bb.7816:                             ;   in Loop: Header=BB0_7082 Depth=1
	s_or_b32 exec_lo, exec_lo, s63
	v_mov_b32_e32 v0, s62
	s_mov_b32 s63, exec_lo
	ds_load_2addr_b64 v[12:15], v0 offset0:21 offset1:22
	ds_load_b64 v[16:17], v0 offset:184
	s_wait_dscnt 0x1
	v_mul_f64_e32 v[0:1], v[4:5], v[14:15]
	s_delay_alu instid0(VALU_DEP_1) | instskip(SKIP_1) | instid1(VALU_DEP_1)
	v_fmac_f64_e32 v[0:1], v[2:3], v[12:13]
	s_wait_dscnt 0x0
	v_fmac_f64_e32 v[0:1], v[6:7], v[16:17]
	s_delay_alu instid0(VALU_DEP_1)
	v_cmpx_ngt_f64_e32 s[60:61], v[0:1]
	s_xor_b32 s63, exec_lo, s63
	s_cbranch_execz .LBB0_7936
; %bb.7817:                             ;   in Loop: Header=BB0_7082 Depth=1
	s_mov_b32 s68, exec_lo
	v_cmpx_ngt_f64_e32 s[66:67], v[0:1]
	s_xor_b32 s68, exec_lo, s68
	s_cbranch_execz .LBB0_7933
; %bb.7818:                             ;   in Loop: Header=BB0_7082 Depth=1
	s_mov_b32 s69, exec_lo
	;; [unrolled: 5-line block ×30, first 2 shown]
	v_cmpx_gt_f64_e32 s[36:37], v[0:1]
; %bb.7847:                             ;   in Loop: Header=BB0_7082 Depth=1
	v_add_nc_u32_e32 v8, 0x4000000, v8
; %bb.7848:                             ;   in Loop: Header=BB0_7082 Depth=1
	s_or_b32 exec_lo, exec_lo, s97
.LBB0_7849:                             ;   in Loop: Header=BB0_7082 Depth=1
	s_and_not1_saveexec_b32 s96, s96
; %bb.7850:                             ;   in Loop: Header=BB0_7082 Depth=1
	s_delay_alu instid0(VALU_DEP_1)
	v_add_nc_u32_e32 v8, 0x8000000, v8
; %bb.7851:                             ;   in Loop: Header=BB0_7082 Depth=1
	s_or_b32 exec_lo, exec_lo, s96
.LBB0_7852:                             ;   in Loop: Header=BB0_7082 Depth=1
	s_and_not1_saveexec_b32 s95, s95
; %bb.7853:                             ;   in Loop: Header=BB0_7082 Depth=1
	s_delay_alu instid0(VALU_DEP_1)
	v_add_nc_u32_e32 v8, 0xc000000, v8
; %bb.7854:                             ;   in Loop: Header=BB0_7082 Depth=1
	s_or_b32 exec_lo, exec_lo, s95
.LBB0_7855:                             ;   in Loop: Header=BB0_7082 Depth=1
	s_and_not1_saveexec_b32 s94, s94
; %bb.7856:                             ;   in Loop: Header=BB0_7082 Depth=1
	s_delay_alu instid0(VALU_DEP_1)
	v_add_nc_u32_e32 v8, 0x10000000, v8
; %bb.7857:                             ;   in Loop: Header=BB0_7082 Depth=1
	s_or_b32 exec_lo, exec_lo, s94
.LBB0_7858:                             ;   in Loop: Header=BB0_7082 Depth=1
	s_and_not1_saveexec_b32 s93, s93
; %bb.7859:                             ;   in Loop: Header=BB0_7082 Depth=1
	s_delay_alu instid0(VALU_DEP_1)
	v_add_nc_u32_e32 v8, 0x14000000, v8
; %bb.7860:                             ;   in Loop: Header=BB0_7082 Depth=1
	s_or_b32 exec_lo, exec_lo, s93
.LBB0_7861:                             ;   in Loop: Header=BB0_7082 Depth=1
	s_and_not1_saveexec_b32 s92, s92
; %bb.7862:                             ;   in Loop: Header=BB0_7082 Depth=1
	s_delay_alu instid0(VALU_DEP_1)
	v_add_nc_u32_e32 v8, 0x18000000, v8
; %bb.7863:                             ;   in Loop: Header=BB0_7082 Depth=1
	s_or_b32 exec_lo, exec_lo, s92
.LBB0_7864:                             ;   in Loop: Header=BB0_7082 Depth=1
	s_and_not1_saveexec_b32 s91, s91
; %bb.7865:                             ;   in Loop: Header=BB0_7082 Depth=1
	s_delay_alu instid0(VALU_DEP_1)
	v_add_nc_u32_e32 v8, 0x1c000000, v8
; %bb.7866:                             ;   in Loop: Header=BB0_7082 Depth=1
	s_or_b32 exec_lo, exec_lo, s91
.LBB0_7867:                             ;   in Loop: Header=BB0_7082 Depth=1
	s_and_not1_saveexec_b32 s90, s90
; %bb.7868:                             ;   in Loop: Header=BB0_7082 Depth=1
	s_delay_alu instid0(VALU_DEP_1)
	v_add_nc_u32_e32 v8, 0x20000000, v8
; %bb.7869:                             ;   in Loop: Header=BB0_7082 Depth=1
	s_or_b32 exec_lo, exec_lo, s90
.LBB0_7870:                             ;   in Loop: Header=BB0_7082 Depth=1
	s_and_not1_saveexec_b32 s89, s89
; %bb.7871:                             ;   in Loop: Header=BB0_7082 Depth=1
	s_delay_alu instid0(VALU_DEP_1)
	v_add_nc_u32_e32 v8, 0x24000000, v8
; %bb.7872:                             ;   in Loop: Header=BB0_7082 Depth=1
	s_or_b32 exec_lo, exec_lo, s89
.LBB0_7873:                             ;   in Loop: Header=BB0_7082 Depth=1
	s_and_not1_saveexec_b32 s88, s88
; %bb.7874:                             ;   in Loop: Header=BB0_7082 Depth=1
	s_delay_alu instid0(VALU_DEP_1)
	v_add_nc_u32_e32 v8, 0x28000000, v8
; %bb.7875:                             ;   in Loop: Header=BB0_7082 Depth=1
	s_or_b32 exec_lo, exec_lo, s88
.LBB0_7876:                             ;   in Loop: Header=BB0_7082 Depth=1
	s_and_not1_saveexec_b32 s87, s87
; %bb.7877:                             ;   in Loop: Header=BB0_7082 Depth=1
	s_delay_alu instid0(VALU_DEP_1)
	v_add_nc_u32_e32 v8, 0x2c000000, v8
; %bb.7878:                             ;   in Loop: Header=BB0_7082 Depth=1
	s_or_b32 exec_lo, exec_lo, s87
.LBB0_7879:                             ;   in Loop: Header=BB0_7082 Depth=1
	s_and_not1_saveexec_b32 s86, s86
; %bb.7880:                             ;   in Loop: Header=BB0_7082 Depth=1
	s_delay_alu instid0(VALU_DEP_1)
	v_add_nc_u32_e32 v8, 0x30000000, v8
; %bb.7881:                             ;   in Loop: Header=BB0_7082 Depth=1
	s_or_b32 exec_lo, exec_lo, s86
.LBB0_7882:                             ;   in Loop: Header=BB0_7082 Depth=1
	s_and_not1_saveexec_b32 s85, s85
; %bb.7883:                             ;   in Loop: Header=BB0_7082 Depth=1
	s_delay_alu instid0(VALU_DEP_1)
	v_add_nc_u32_e32 v8, 0x34000000, v8
; %bb.7884:                             ;   in Loop: Header=BB0_7082 Depth=1
	s_or_b32 exec_lo, exec_lo, s85
.LBB0_7885:                             ;   in Loop: Header=BB0_7082 Depth=1
	s_and_not1_saveexec_b32 s84, s84
; %bb.7886:                             ;   in Loop: Header=BB0_7082 Depth=1
	s_delay_alu instid0(VALU_DEP_1)
	v_add_nc_u32_e32 v8, 0x38000000, v8
; %bb.7887:                             ;   in Loop: Header=BB0_7082 Depth=1
	s_or_b32 exec_lo, exec_lo, s84
.LBB0_7888:                             ;   in Loop: Header=BB0_7082 Depth=1
	s_and_not1_saveexec_b32 s83, s83
; %bb.7889:                             ;   in Loop: Header=BB0_7082 Depth=1
	s_delay_alu instid0(VALU_DEP_1)
	v_add_nc_u32_e32 v8, 0x3c000000, v8
; %bb.7890:                             ;   in Loop: Header=BB0_7082 Depth=1
	s_or_b32 exec_lo, exec_lo, s83
.LBB0_7891:                             ;   in Loop: Header=BB0_7082 Depth=1
	s_and_not1_saveexec_b32 s82, s82
; %bb.7892:                             ;   in Loop: Header=BB0_7082 Depth=1
	s_delay_alu instid0(VALU_DEP_1)
	v_add_nc_u32_e32 v8, 2.0, v8
; %bb.7893:                             ;   in Loop: Header=BB0_7082 Depth=1
	s_or_b32 exec_lo, exec_lo, s82
.LBB0_7894:                             ;   in Loop: Header=BB0_7082 Depth=1
	s_and_not1_saveexec_b32 s81, s81
; %bb.7895:                             ;   in Loop: Header=BB0_7082 Depth=1
	s_delay_alu instid0(VALU_DEP_1)
	v_add_nc_u32_e32 v8, 0x44000000, v8
; %bb.7896:                             ;   in Loop: Header=BB0_7082 Depth=1
	s_or_b32 exec_lo, exec_lo, s81
.LBB0_7897:                             ;   in Loop: Header=BB0_7082 Depth=1
	s_and_not1_saveexec_b32 s80, s80
; %bb.7898:                             ;   in Loop: Header=BB0_7082 Depth=1
	s_delay_alu instid0(VALU_DEP_1)
	v_add_nc_u32_e32 v8, 0x48000000, v8
; %bb.7899:                             ;   in Loop: Header=BB0_7082 Depth=1
	s_or_b32 exec_lo, exec_lo, s80
.LBB0_7900:                             ;   in Loop: Header=BB0_7082 Depth=1
	s_and_not1_saveexec_b32 s79, s79
; %bb.7901:                             ;   in Loop: Header=BB0_7082 Depth=1
	s_delay_alu instid0(VALU_DEP_1)
	v_add_nc_u32_e32 v8, 0x4c000000, v8
; %bb.7902:                             ;   in Loop: Header=BB0_7082 Depth=1
	s_or_b32 exec_lo, exec_lo, s79
.LBB0_7903:                             ;   in Loop: Header=BB0_7082 Depth=1
	s_and_not1_saveexec_b32 s78, s78
; %bb.7904:                             ;   in Loop: Header=BB0_7082 Depth=1
	s_delay_alu instid0(VALU_DEP_1)
	v_add_nc_u32_e32 v8, 0x50000000, v8
; %bb.7905:                             ;   in Loop: Header=BB0_7082 Depth=1
	s_or_b32 exec_lo, exec_lo, s78
.LBB0_7906:                             ;   in Loop: Header=BB0_7082 Depth=1
	s_and_not1_saveexec_b32 s77, s77
; %bb.7907:                             ;   in Loop: Header=BB0_7082 Depth=1
	s_delay_alu instid0(VALU_DEP_1)
	v_add_nc_u32_e32 v8, 0x54000000, v8
; %bb.7908:                             ;   in Loop: Header=BB0_7082 Depth=1
	s_or_b32 exec_lo, exec_lo, s77
.LBB0_7909:                             ;   in Loop: Header=BB0_7082 Depth=1
	s_and_not1_saveexec_b32 s76, s76
; %bb.7910:                             ;   in Loop: Header=BB0_7082 Depth=1
	s_delay_alu instid0(VALU_DEP_1)
	v_add_nc_u32_e32 v8, 0x58000000, v8
; %bb.7911:                             ;   in Loop: Header=BB0_7082 Depth=1
	s_or_b32 exec_lo, exec_lo, s76
.LBB0_7912:                             ;   in Loop: Header=BB0_7082 Depth=1
	s_and_not1_saveexec_b32 s75, s75
; %bb.7913:                             ;   in Loop: Header=BB0_7082 Depth=1
	s_delay_alu instid0(VALU_DEP_1)
	v_add_nc_u32_e32 v8, 0x5c000000, v8
; %bb.7914:                             ;   in Loop: Header=BB0_7082 Depth=1
	s_or_b32 exec_lo, exec_lo, s75
.LBB0_7915:                             ;   in Loop: Header=BB0_7082 Depth=1
	s_and_not1_saveexec_b32 s74, s74
; %bb.7916:                             ;   in Loop: Header=BB0_7082 Depth=1
	s_delay_alu instid0(VALU_DEP_1)
	v_add_nc_u32_e32 v8, 0x60000000, v8
; %bb.7917:                             ;   in Loop: Header=BB0_7082 Depth=1
	s_or_b32 exec_lo, exec_lo, s74
.LBB0_7918:                             ;   in Loop: Header=BB0_7082 Depth=1
	s_and_not1_saveexec_b32 s73, s73
; %bb.7919:                             ;   in Loop: Header=BB0_7082 Depth=1
	s_delay_alu instid0(VALU_DEP_1)
	v_add_nc_u32_e32 v8, 0x64000000, v8
; %bb.7920:                             ;   in Loop: Header=BB0_7082 Depth=1
	s_or_b32 exec_lo, exec_lo, s73
.LBB0_7921:                             ;   in Loop: Header=BB0_7082 Depth=1
	s_and_not1_saveexec_b32 s72, s72
; %bb.7922:                             ;   in Loop: Header=BB0_7082 Depth=1
	s_delay_alu instid0(VALU_DEP_1)
	v_add_nc_u32_e32 v8, 0x68000000, v8
; %bb.7923:                             ;   in Loop: Header=BB0_7082 Depth=1
	s_or_b32 exec_lo, exec_lo, s72
.LBB0_7924:                             ;   in Loop: Header=BB0_7082 Depth=1
	s_and_not1_saveexec_b32 s71, s71
; %bb.7925:                             ;   in Loop: Header=BB0_7082 Depth=1
	s_delay_alu instid0(VALU_DEP_1)
	v_add_nc_u32_e32 v8, 0x6c000000, v8
; %bb.7926:                             ;   in Loop: Header=BB0_7082 Depth=1
	s_or_b32 exec_lo, exec_lo, s71
.LBB0_7927:                             ;   in Loop: Header=BB0_7082 Depth=1
	s_and_not1_saveexec_b32 s70, s70
; %bb.7928:                             ;   in Loop: Header=BB0_7082 Depth=1
	s_delay_alu instid0(VALU_DEP_1)
	v_add_nc_u32_e32 v8, 0x70000000, v8
; %bb.7929:                             ;   in Loop: Header=BB0_7082 Depth=1
	s_or_b32 exec_lo, exec_lo, s70
.LBB0_7930:                             ;   in Loop: Header=BB0_7082 Depth=1
	s_and_not1_saveexec_b32 s69, s69
; %bb.7931:                             ;   in Loop: Header=BB0_7082 Depth=1
	s_delay_alu instid0(VALU_DEP_1)
	v_add_nc_u32_e32 v8, 0x74000000, v8
; %bb.7932:                             ;   in Loop: Header=BB0_7082 Depth=1
	s_or_b32 exec_lo, exec_lo, s69
.LBB0_7933:                             ;   in Loop: Header=BB0_7082 Depth=1
	s_and_not1_saveexec_b32 s68, s68
; %bb.7934:                             ;   in Loop: Header=BB0_7082 Depth=1
	s_delay_alu instid0(VALU_DEP_1)
	v_add_nc_u32_e32 v8, 0x78000000, v8
; %bb.7935:                             ;   in Loop: Header=BB0_7082 Depth=1
	s_or_b32 exec_lo, exec_lo, s68
.LBB0_7936:                             ;   in Loop: Header=BB0_7082 Depth=1
	s_and_not1_saveexec_b32 s63, s63
; %bb.7937:                             ;   in Loop: Header=BB0_7082 Depth=1
	s_delay_alu instid0(VALU_DEP_1)
	v_add_nc_u32_e32 v8, 0x7c000000, v8
; %bb.7938:                             ;   in Loop: Header=BB0_7082 Depth=1
	s_or_b32 exec_lo, exec_lo, s63
	v_dual_mov_b32 v0, s62 :: v_dual_mov_b32 v9, 0x7c
	s_lshl_b32 s63, s33, 12
	s_mov_b32 s68, exec_lo
	v_add3_u32 v11, v10, s63, 0x4000
	ds_load_2addr_b64 v[12:15], v0 offset0:24 offset1:25
	ds_load_b64 v[16:17], v0 offset:208
	global_store_b32 v11, v8, s[34:35] scale_offset
	s_wait_dscnt 0x1
	v_mul_f64_e32 v[0:1], v[4:5], v[14:15]
	s_delay_alu instid0(VALU_DEP_1) | instskip(SKIP_1) | instid1(VALU_DEP_1)
	v_fmac_f64_e32 v[0:1], v[2:3], v[12:13]
	s_wait_dscnt 0x0
	v_fmac_f64_e32 v[0:1], v[6:7], v[16:17]
	s_wait_xcnt 0x0
	s_delay_alu instid0(VALU_DEP_1)
	v_cmpx_ngt_f64_e32 s[60:61], v[0:1]
	s_cbranch_execz .LBB0_8000
; %bb.7939:                             ;   in Loop: Header=BB0_7082 Depth=1
	v_mov_b32_e32 v9, 0x78
	s_mov_b32 s69, exec_lo
	v_cmpx_ngt_f64_e32 s[66:67], v[0:1]
	s_cbranch_execz .LBB0_7999
; %bb.7940:                             ;   in Loop: Header=BB0_7082 Depth=1
	v_mov_b32_e32 v9, 0x74
	s_mov_b32 s70, exec_lo
	;; [unrolled: 5-line block ×30, first 2 shown]
	v_cmpx_gt_f64_e32 s[36:37], v[0:1]
; %bb.7969:                             ;   in Loop: Header=BB0_7082 Depth=1
	v_mov_b32_e32 v9, 4
; %bb.7970:                             ;   in Loop: Header=BB0_7082 Depth=1
	s_or_b32 exec_lo, exec_lo, s98
.LBB0_7971:                             ;   in Loop: Header=BB0_7082 Depth=1
	s_delay_alu instid0(SALU_CYCLE_1)
	s_or_b32 exec_lo, exec_lo, s97
.LBB0_7972:                             ;   in Loop: Header=BB0_7082 Depth=1
	s_delay_alu instid0(SALU_CYCLE_1)
	s_or_b32 exec_lo, exec_lo, s96
.LBB0_7973:                             ;   in Loop: Header=BB0_7082 Depth=1
	s_delay_alu instid0(SALU_CYCLE_1)
	s_or_b32 exec_lo, exec_lo, s95
.LBB0_7974:                             ;   in Loop: Header=BB0_7082 Depth=1
	s_delay_alu instid0(SALU_CYCLE_1)
	s_or_b32 exec_lo, exec_lo, s94
.LBB0_7975:                             ;   in Loop: Header=BB0_7082 Depth=1
	s_delay_alu instid0(SALU_CYCLE_1)
	s_or_b32 exec_lo, exec_lo, s93
.LBB0_7976:                             ;   in Loop: Header=BB0_7082 Depth=1
	s_delay_alu instid0(SALU_CYCLE_1)
	s_or_b32 exec_lo, exec_lo, s92
.LBB0_7977:                             ;   in Loop: Header=BB0_7082 Depth=1
	s_delay_alu instid0(SALU_CYCLE_1)
	s_or_b32 exec_lo, exec_lo, s91
.LBB0_7978:                             ;   in Loop: Header=BB0_7082 Depth=1
	s_delay_alu instid0(SALU_CYCLE_1)
	s_or_b32 exec_lo, exec_lo, s90
.LBB0_7979:                             ;   in Loop: Header=BB0_7082 Depth=1
	s_delay_alu instid0(SALU_CYCLE_1)
	s_or_b32 exec_lo, exec_lo, s89
.LBB0_7980:                             ;   in Loop: Header=BB0_7082 Depth=1
	s_delay_alu instid0(SALU_CYCLE_1)
	s_or_b32 exec_lo, exec_lo, s88
.LBB0_7981:                             ;   in Loop: Header=BB0_7082 Depth=1
	s_delay_alu instid0(SALU_CYCLE_1)
	s_or_b32 exec_lo, exec_lo, s87
.LBB0_7982:                             ;   in Loop: Header=BB0_7082 Depth=1
	s_delay_alu instid0(SALU_CYCLE_1)
	s_or_b32 exec_lo, exec_lo, s86
.LBB0_7983:                             ;   in Loop: Header=BB0_7082 Depth=1
	s_delay_alu instid0(SALU_CYCLE_1)
	s_or_b32 exec_lo, exec_lo, s85
.LBB0_7984:                             ;   in Loop: Header=BB0_7082 Depth=1
	s_delay_alu instid0(SALU_CYCLE_1)
	s_or_b32 exec_lo, exec_lo, s84
.LBB0_7985:                             ;   in Loop: Header=BB0_7082 Depth=1
	s_delay_alu instid0(SALU_CYCLE_1)
	s_or_b32 exec_lo, exec_lo, s83
.LBB0_7986:                             ;   in Loop: Header=BB0_7082 Depth=1
	s_delay_alu instid0(SALU_CYCLE_1)
	s_or_b32 exec_lo, exec_lo, s82
.LBB0_7987:                             ;   in Loop: Header=BB0_7082 Depth=1
	s_delay_alu instid0(SALU_CYCLE_1)
	s_or_b32 exec_lo, exec_lo, s81
.LBB0_7988:                             ;   in Loop: Header=BB0_7082 Depth=1
	s_delay_alu instid0(SALU_CYCLE_1)
	s_or_b32 exec_lo, exec_lo, s80
.LBB0_7989:                             ;   in Loop: Header=BB0_7082 Depth=1
	s_delay_alu instid0(SALU_CYCLE_1)
	s_or_b32 exec_lo, exec_lo, s79
.LBB0_7990:                             ;   in Loop: Header=BB0_7082 Depth=1
	s_delay_alu instid0(SALU_CYCLE_1)
	s_or_b32 exec_lo, exec_lo, s78
.LBB0_7991:                             ;   in Loop: Header=BB0_7082 Depth=1
	s_delay_alu instid0(SALU_CYCLE_1)
	s_or_b32 exec_lo, exec_lo, s77
.LBB0_7992:                             ;   in Loop: Header=BB0_7082 Depth=1
	s_delay_alu instid0(SALU_CYCLE_1)
	s_or_b32 exec_lo, exec_lo, s76
.LBB0_7993:                             ;   in Loop: Header=BB0_7082 Depth=1
	s_delay_alu instid0(SALU_CYCLE_1)
	s_or_b32 exec_lo, exec_lo, s75
.LBB0_7994:                             ;   in Loop: Header=BB0_7082 Depth=1
	s_delay_alu instid0(SALU_CYCLE_1)
	s_or_b32 exec_lo, exec_lo, s74
.LBB0_7995:                             ;   in Loop: Header=BB0_7082 Depth=1
	s_delay_alu instid0(SALU_CYCLE_1)
	s_or_b32 exec_lo, exec_lo, s73
.LBB0_7996:                             ;   in Loop: Header=BB0_7082 Depth=1
	s_delay_alu instid0(SALU_CYCLE_1)
	s_or_b32 exec_lo, exec_lo, s72
.LBB0_7997:                             ;   in Loop: Header=BB0_7082 Depth=1
	s_delay_alu instid0(SALU_CYCLE_1)
	s_or_b32 exec_lo, exec_lo, s71
.LBB0_7998:                             ;   in Loop: Header=BB0_7082 Depth=1
	s_delay_alu instid0(SALU_CYCLE_1)
	s_or_b32 exec_lo, exec_lo, s70
.LBB0_7999:                             ;   in Loop: Header=BB0_7082 Depth=1
	s_delay_alu instid0(SALU_CYCLE_1)
	s_or_b32 exec_lo, exec_lo, s69
.LBB0_8000:                             ;   in Loop: Header=BB0_7082 Depth=1
	s_delay_alu instid0(SALU_CYCLE_1)
	s_or_b32 exec_lo, exec_lo, s68
	v_mov_b32_e32 v0, s62
	s_mov_b32 s68, exec_lo
	ds_load_2addr_b64 v[12:15], v0 offset0:27 offset1:28
	ds_load_b64 v[16:17], v0 offset:232
	s_wait_dscnt 0x1
	v_mul_f64_e32 v[0:1], v[4:5], v[14:15]
	s_delay_alu instid0(VALU_DEP_1) | instskip(SKIP_1) | instid1(VALU_DEP_1)
	v_fmac_f64_e32 v[0:1], v[2:3], v[12:13]
	s_wait_dscnt 0x0
	v_fmac_f64_e32 v[0:1], v[6:7], v[16:17]
	s_delay_alu instid0(VALU_DEP_1)
	v_cmpx_ngt_f64_e32 s[60:61], v[0:1]
	s_xor_b32 s68, exec_lo, s68
	s_cbranch_execz .LBB0_8120
; %bb.8001:                             ;   in Loop: Header=BB0_7082 Depth=1
	s_mov_b32 s69, exec_lo
	v_cmpx_ngt_f64_e32 s[66:67], v[0:1]
	s_xor_b32 s69, exec_lo, s69
	s_cbranch_execz .LBB0_8117
; %bb.8002:                             ;   in Loop: Header=BB0_7082 Depth=1
	s_mov_b32 s70, exec_lo
	;; [unrolled: 5-line block ×30, first 2 shown]
	v_cmpx_gt_f64_e32 s[36:37], v[0:1]
; %bb.8031:                             ;   in Loop: Header=BB0_7082 Depth=1
	v_or_b32_e32 v9, 0x400, v9
; %bb.8032:                             ;   in Loop: Header=BB0_7082 Depth=1
	s_or_b32 exec_lo, exec_lo, s98
.LBB0_8033:                             ;   in Loop: Header=BB0_7082 Depth=1
	s_and_not1_saveexec_b32 s97, s97
; %bb.8034:                             ;   in Loop: Header=BB0_7082 Depth=1
	s_delay_alu instid0(VALU_DEP_1)
	v_or_b32_e32 v9, 0x800, v9
; %bb.8035:                             ;   in Loop: Header=BB0_7082 Depth=1
	s_or_b32 exec_lo, exec_lo, s97
.LBB0_8036:                             ;   in Loop: Header=BB0_7082 Depth=1
	s_and_not1_saveexec_b32 s96, s96
; %bb.8037:                             ;   in Loop: Header=BB0_7082 Depth=1
	s_delay_alu instid0(VALU_DEP_1)
	v_or_b32_e32 v9, 0xc00, v9
; %bb.8038:                             ;   in Loop: Header=BB0_7082 Depth=1
	s_or_b32 exec_lo, exec_lo, s96
.LBB0_8039:                             ;   in Loop: Header=BB0_7082 Depth=1
	s_and_not1_saveexec_b32 s95, s95
; %bb.8040:                             ;   in Loop: Header=BB0_7082 Depth=1
	s_delay_alu instid0(VALU_DEP_1)
	v_or_b32_e32 v9, 0x1000, v9
; %bb.8041:                             ;   in Loop: Header=BB0_7082 Depth=1
	s_or_b32 exec_lo, exec_lo, s95
.LBB0_8042:                             ;   in Loop: Header=BB0_7082 Depth=1
	s_and_not1_saveexec_b32 s94, s94
; %bb.8043:                             ;   in Loop: Header=BB0_7082 Depth=1
	s_delay_alu instid0(VALU_DEP_1)
	v_or_b32_e32 v9, 0x1400, v9
; %bb.8044:                             ;   in Loop: Header=BB0_7082 Depth=1
	s_or_b32 exec_lo, exec_lo, s94
.LBB0_8045:                             ;   in Loop: Header=BB0_7082 Depth=1
	s_and_not1_saveexec_b32 s93, s93
; %bb.8046:                             ;   in Loop: Header=BB0_7082 Depth=1
	s_delay_alu instid0(VALU_DEP_1)
	v_or_b32_e32 v9, 0x1800, v9
; %bb.8047:                             ;   in Loop: Header=BB0_7082 Depth=1
	s_or_b32 exec_lo, exec_lo, s93
.LBB0_8048:                             ;   in Loop: Header=BB0_7082 Depth=1
	s_and_not1_saveexec_b32 s92, s92
; %bb.8049:                             ;   in Loop: Header=BB0_7082 Depth=1
	s_delay_alu instid0(VALU_DEP_1)
	v_or_b32_e32 v9, 0x1c00, v9
; %bb.8050:                             ;   in Loop: Header=BB0_7082 Depth=1
	s_or_b32 exec_lo, exec_lo, s92
.LBB0_8051:                             ;   in Loop: Header=BB0_7082 Depth=1
	s_and_not1_saveexec_b32 s91, s91
; %bb.8052:                             ;   in Loop: Header=BB0_7082 Depth=1
	s_delay_alu instid0(VALU_DEP_1)
	v_or_b32_e32 v9, 0x2000, v9
; %bb.8053:                             ;   in Loop: Header=BB0_7082 Depth=1
	s_or_b32 exec_lo, exec_lo, s91
.LBB0_8054:                             ;   in Loop: Header=BB0_7082 Depth=1
	s_and_not1_saveexec_b32 s90, s90
; %bb.8055:                             ;   in Loop: Header=BB0_7082 Depth=1
	s_delay_alu instid0(VALU_DEP_1)
	v_or_b32_e32 v9, 0x2400, v9
; %bb.8056:                             ;   in Loop: Header=BB0_7082 Depth=1
	s_or_b32 exec_lo, exec_lo, s90
.LBB0_8057:                             ;   in Loop: Header=BB0_7082 Depth=1
	s_and_not1_saveexec_b32 s89, s89
; %bb.8058:                             ;   in Loop: Header=BB0_7082 Depth=1
	s_delay_alu instid0(VALU_DEP_1)
	v_or_b32_e32 v9, 0x2800, v9
; %bb.8059:                             ;   in Loop: Header=BB0_7082 Depth=1
	s_or_b32 exec_lo, exec_lo, s89
.LBB0_8060:                             ;   in Loop: Header=BB0_7082 Depth=1
	s_and_not1_saveexec_b32 s88, s88
; %bb.8061:                             ;   in Loop: Header=BB0_7082 Depth=1
	s_delay_alu instid0(VALU_DEP_1)
	v_or_b32_e32 v9, 0x2c00, v9
; %bb.8062:                             ;   in Loop: Header=BB0_7082 Depth=1
	s_or_b32 exec_lo, exec_lo, s88
.LBB0_8063:                             ;   in Loop: Header=BB0_7082 Depth=1
	s_and_not1_saveexec_b32 s87, s87
; %bb.8064:                             ;   in Loop: Header=BB0_7082 Depth=1
	s_delay_alu instid0(VALU_DEP_1)
	v_or_b32_e32 v9, 0x3000, v9
; %bb.8065:                             ;   in Loop: Header=BB0_7082 Depth=1
	s_or_b32 exec_lo, exec_lo, s87
.LBB0_8066:                             ;   in Loop: Header=BB0_7082 Depth=1
	s_and_not1_saveexec_b32 s86, s86
; %bb.8067:                             ;   in Loop: Header=BB0_7082 Depth=1
	s_delay_alu instid0(VALU_DEP_1)
	v_or_b32_e32 v9, 0x3400, v9
; %bb.8068:                             ;   in Loop: Header=BB0_7082 Depth=1
	s_or_b32 exec_lo, exec_lo, s86
.LBB0_8069:                             ;   in Loop: Header=BB0_7082 Depth=1
	s_and_not1_saveexec_b32 s85, s85
; %bb.8070:                             ;   in Loop: Header=BB0_7082 Depth=1
	s_delay_alu instid0(VALU_DEP_1)
	v_or_b32_e32 v9, 0x3800, v9
; %bb.8071:                             ;   in Loop: Header=BB0_7082 Depth=1
	s_or_b32 exec_lo, exec_lo, s85
.LBB0_8072:                             ;   in Loop: Header=BB0_7082 Depth=1
	s_and_not1_saveexec_b32 s84, s84
; %bb.8073:                             ;   in Loop: Header=BB0_7082 Depth=1
	s_delay_alu instid0(VALU_DEP_1)
	v_or_b32_e32 v9, 0x3c00, v9
; %bb.8074:                             ;   in Loop: Header=BB0_7082 Depth=1
	s_or_b32 exec_lo, exec_lo, s84
.LBB0_8075:                             ;   in Loop: Header=BB0_7082 Depth=1
	s_and_not1_saveexec_b32 s83, s83
; %bb.8076:                             ;   in Loop: Header=BB0_7082 Depth=1
	s_delay_alu instid0(VALU_DEP_1)
	v_or_b32_e32 v9, 0x4000, v9
; %bb.8077:                             ;   in Loop: Header=BB0_7082 Depth=1
	s_or_b32 exec_lo, exec_lo, s83
.LBB0_8078:                             ;   in Loop: Header=BB0_7082 Depth=1
	s_and_not1_saveexec_b32 s82, s82
; %bb.8079:                             ;   in Loop: Header=BB0_7082 Depth=1
	s_delay_alu instid0(VALU_DEP_1)
	v_or_b32_e32 v9, 0x4400, v9
; %bb.8080:                             ;   in Loop: Header=BB0_7082 Depth=1
	s_or_b32 exec_lo, exec_lo, s82
.LBB0_8081:                             ;   in Loop: Header=BB0_7082 Depth=1
	s_and_not1_saveexec_b32 s81, s81
; %bb.8082:                             ;   in Loop: Header=BB0_7082 Depth=1
	s_delay_alu instid0(VALU_DEP_1)
	v_or_b32_e32 v9, 0x4800, v9
; %bb.8083:                             ;   in Loop: Header=BB0_7082 Depth=1
	s_or_b32 exec_lo, exec_lo, s81
.LBB0_8084:                             ;   in Loop: Header=BB0_7082 Depth=1
	s_and_not1_saveexec_b32 s80, s80
; %bb.8085:                             ;   in Loop: Header=BB0_7082 Depth=1
	s_delay_alu instid0(VALU_DEP_1)
	v_or_b32_e32 v9, 0x4c00, v9
; %bb.8086:                             ;   in Loop: Header=BB0_7082 Depth=1
	s_or_b32 exec_lo, exec_lo, s80
.LBB0_8087:                             ;   in Loop: Header=BB0_7082 Depth=1
	s_and_not1_saveexec_b32 s79, s79
; %bb.8088:                             ;   in Loop: Header=BB0_7082 Depth=1
	s_delay_alu instid0(VALU_DEP_1)
	v_or_b32_e32 v9, 0x5000, v9
; %bb.8089:                             ;   in Loop: Header=BB0_7082 Depth=1
	s_or_b32 exec_lo, exec_lo, s79
.LBB0_8090:                             ;   in Loop: Header=BB0_7082 Depth=1
	s_and_not1_saveexec_b32 s78, s78
; %bb.8091:                             ;   in Loop: Header=BB0_7082 Depth=1
	s_delay_alu instid0(VALU_DEP_1)
	v_or_b32_e32 v9, 0x5400, v9
; %bb.8092:                             ;   in Loop: Header=BB0_7082 Depth=1
	s_or_b32 exec_lo, exec_lo, s78
.LBB0_8093:                             ;   in Loop: Header=BB0_7082 Depth=1
	s_and_not1_saveexec_b32 s77, s77
; %bb.8094:                             ;   in Loop: Header=BB0_7082 Depth=1
	s_delay_alu instid0(VALU_DEP_1)
	v_or_b32_e32 v9, 0x5800, v9
; %bb.8095:                             ;   in Loop: Header=BB0_7082 Depth=1
	s_or_b32 exec_lo, exec_lo, s77
.LBB0_8096:                             ;   in Loop: Header=BB0_7082 Depth=1
	s_and_not1_saveexec_b32 s76, s76
; %bb.8097:                             ;   in Loop: Header=BB0_7082 Depth=1
	s_delay_alu instid0(VALU_DEP_1)
	v_or_b32_e32 v9, 0x5c00, v9
; %bb.8098:                             ;   in Loop: Header=BB0_7082 Depth=1
	s_or_b32 exec_lo, exec_lo, s76
.LBB0_8099:                             ;   in Loop: Header=BB0_7082 Depth=1
	s_and_not1_saveexec_b32 s75, s75
; %bb.8100:                             ;   in Loop: Header=BB0_7082 Depth=1
	s_delay_alu instid0(VALU_DEP_1)
	v_or_b32_e32 v9, 0x6000, v9
; %bb.8101:                             ;   in Loop: Header=BB0_7082 Depth=1
	s_or_b32 exec_lo, exec_lo, s75
.LBB0_8102:                             ;   in Loop: Header=BB0_7082 Depth=1
	s_and_not1_saveexec_b32 s74, s74
; %bb.8103:                             ;   in Loop: Header=BB0_7082 Depth=1
	s_delay_alu instid0(VALU_DEP_1)
	v_or_b32_e32 v9, 0x6400, v9
; %bb.8104:                             ;   in Loop: Header=BB0_7082 Depth=1
	s_or_b32 exec_lo, exec_lo, s74
.LBB0_8105:                             ;   in Loop: Header=BB0_7082 Depth=1
	s_and_not1_saveexec_b32 s73, s73
; %bb.8106:                             ;   in Loop: Header=BB0_7082 Depth=1
	s_delay_alu instid0(VALU_DEP_1)
	v_or_b32_e32 v9, 0x6800, v9
; %bb.8107:                             ;   in Loop: Header=BB0_7082 Depth=1
	s_or_b32 exec_lo, exec_lo, s73
.LBB0_8108:                             ;   in Loop: Header=BB0_7082 Depth=1
	s_and_not1_saveexec_b32 s72, s72
; %bb.8109:                             ;   in Loop: Header=BB0_7082 Depth=1
	s_delay_alu instid0(VALU_DEP_1)
	v_or_b32_e32 v9, 0x6c00, v9
; %bb.8110:                             ;   in Loop: Header=BB0_7082 Depth=1
	s_or_b32 exec_lo, exec_lo, s72
.LBB0_8111:                             ;   in Loop: Header=BB0_7082 Depth=1
	s_and_not1_saveexec_b32 s71, s71
; %bb.8112:                             ;   in Loop: Header=BB0_7082 Depth=1
	s_delay_alu instid0(VALU_DEP_1)
	v_or_b32_e32 v9, 0x7000, v9
; %bb.8113:                             ;   in Loop: Header=BB0_7082 Depth=1
	s_or_b32 exec_lo, exec_lo, s71
.LBB0_8114:                             ;   in Loop: Header=BB0_7082 Depth=1
	s_and_not1_saveexec_b32 s70, s70
; %bb.8115:                             ;   in Loop: Header=BB0_7082 Depth=1
	s_delay_alu instid0(VALU_DEP_1)
	v_or_b32_e32 v9, 0x7400, v9
; %bb.8116:                             ;   in Loop: Header=BB0_7082 Depth=1
	s_or_b32 exec_lo, exec_lo, s70
.LBB0_8117:                             ;   in Loop: Header=BB0_7082 Depth=1
	s_and_not1_saveexec_b32 s69, s69
; %bb.8118:                             ;   in Loop: Header=BB0_7082 Depth=1
	s_delay_alu instid0(VALU_DEP_1)
	v_or_b32_e32 v9, 0x7800, v9
; %bb.8119:                             ;   in Loop: Header=BB0_7082 Depth=1
	s_or_b32 exec_lo, exec_lo, s69
.LBB0_8120:                             ;   in Loop: Header=BB0_7082 Depth=1
	s_and_not1_saveexec_b32 s68, s68
; %bb.8121:                             ;   in Loop: Header=BB0_7082 Depth=1
	s_delay_alu instid0(VALU_DEP_1)
	v_or_b32_e32 v9, 0x7c00, v9
; %bb.8122:                             ;   in Loop: Header=BB0_7082 Depth=1
	s_or_b32 exec_lo, exec_lo, s68
	v_mov_b32_e32 v0, s62
	s_mov_b32 s68, exec_lo
	ds_load_2addr_b64 v[12:15], v0 offset0:30 offset1:31
	ds_load_b64 v[16:17], v0 offset:256
	s_wait_dscnt 0x1
	v_mul_f64_e32 v[0:1], v[4:5], v[14:15]
	s_delay_alu instid0(VALU_DEP_1) | instskip(SKIP_1) | instid1(VALU_DEP_1)
	v_fmac_f64_e32 v[0:1], v[2:3], v[12:13]
	s_wait_dscnt 0x0
	v_fmac_f64_e32 v[0:1], v[6:7], v[16:17]
	s_delay_alu instid0(VALU_DEP_1)
	v_cmpx_ngt_f64_e32 s[60:61], v[0:1]
	s_xor_b32 s68, exec_lo, s68
	s_cbranch_execz .LBB0_8242
; %bb.8123:                             ;   in Loop: Header=BB0_7082 Depth=1
	s_mov_b32 s69, exec_lo
	v_cmpx_ngt_f64_e32 s[66:67], v[0:1]
	s_xor_b32 s69, exec_lo, s69
	s_cbranch_execz .LBB0_8239
; %bb.8124:                             ;   in Loop: Header=BB0_7082 Depth=1
	s_mov_b32 s70, exec_lo
	;; [unrolled: 5-line block ×30, first 2 shown]
	v_cmpx_gt_f64_e32 s[36:37], v[0:1]
; %bb.8153:                             ;   in Loop: Header=BB0_7082 Depth=1
	v_add_nc_u32_e32 v9, 0x40000, v9
; %bb.8154:                             ;   in Loop: Header=BB0_7082 Depth=1
	s_or_b32 exec_lo, exec_lo, s98
.LBB0_8155:                             ;   in Loop: Header=BB0_7082 Depth=1
	s_and_not1_saveexec_b32 s97, s97
; %bb.8156:                             ;   in Loop: Header=BB0_7082 Depth=1
	s_delay_alu instid0(VALU_DEP_1)
	v_add_nc_u32_e32 v9, 0x80000, v9
; %bb.8157:                             ;   in Loop: Header=BB0_7082 Depth=1
	s_or_b32 exec_lo, exec_lo, s97
.LBB0_8158:                             ;   in Loop: Header=BB0_7082 Depth=1
	s_and_not1_saveexec_b32 s96, s96
; %bb.8159:                             ;   in Loop: Header=BB0_7082 Depth=1
	s_delay_alu instid0(VALU_DEP_1)
	v_add_nc_u32_e32 v9, 0xc0000, v9
; %bb.8160:                             ;   in Loop: Header=BB0_7082 Depth=1
	s_or_b32 exec_lo, exec_lo, s96
.LBB0_8161:                             ;   in Loop: Header=BB0_7082 Depth=1
	s_and_not1_saveexec_b32 s95, s95
; %bb.8162:                             ;   in Loop: Header=BB0_7082 Depth=1
	s_delay_alu instid0(VALU_DEP_1)
	v_add_nc_u32_e32 v9, 0x100000, v9
; %bb.8163:                             ;   in Loop: Header=BB0_7082 Depth=1
	s_or_b32 exec_lo, exec_lo, s95
.LBB0_8164:                             ;   in Loop: Header=BB0_7082 Depth=1
	s_and_not1_saveexec_b32 s94, s94
; %bb.8165:                             ;   in Loop: Header=BB0_7082 Depth=1
	s_delay_alu instid0(VALU_DEP_1)
	v_add_nc_u32_e32 v9, 0x140000, v9
; %bb.8166:                             ;   in Loop: Header=BB0_7082 Depth=1
	s_or_b32 exec_lo, exec_lo, s94
.LBB0_8167:                             ;   in Loop: Header=BB0_7082 Depth=1
	s_and_not1_saveexec_b32 s93, s93
; %bb.8168:                             ;   in Loop: Header=BB0_7082 Depth=1
	s_delay_alu instid0(VALU_DEP_1)
	v_add_nc_u32_e32 v9, 0x180000, v9
; %bb.8169:                             ;   in Loop: Header=BB0_7082 Depth=1
	s_or_b32 exec_lo, exec_lo, s93
.LBB0_8170:                             ;   in Loop: Header=BB0_7082 Depth=1
	s_and_not1_saveexec_b32 s92, s92
; %bb.8171:                             ;   in Loop: Header=BB0_7082 Depth=1
	s_delay_alu instid0(VALU_DEP_1)
	v_add_nc_u32_e32 v9, 0x1c0000, v9
; %bb.8172:                             ;   in Loop: Header=BB0_7082 Depth=1
	s_or_b32 exec_lo, exec_lo, s92
.LBB0_8173:                             ;   in Loop: Header=BB0_7082 Depth=1
	s_and_not1_saveexec_b32 s91, s91
; %bb.8174:                             ;   in Loop: Header=BB0_7082 Depth=1
	s_delay_alu instid0(VALU_DEP_1)
	v_add_nc_u32_e32 v9, 0x200000, v9
; %bb.8175:                             ;   in Loop: Header=BB0_7082 Depth=1
	s_or_b32 exec_lo, exec_lo, s91
.LBB0_8176:                             ;   in Loop: Header=BB0_7082 Depth=1
	s_and_not1_saveexec_b32 s90, s90
; %bb.8177:                             ;   in Loop: Header=BB0_7082 Depth=1
	s_delay_alu instid0(VALU_DEP_1)
	v_add_nc_u32_e32 v9, 0x240000, v9
; %bb.8178:                             ;   in Loop: Header=BB0_7082 Depth=1
	s_or_b32 exec_lo, exec_lo, s90
.LBB0_8179:                             ;   in Loop: Header=BB0_7082 Depth=1
	s_and_not1_saveexec_b32 s89, s89
; %bb.8180:                             ;   in Loop: Header=BB0_7082 Depth=1
	s_delay_alu instid0(VALU_DEP_1)
	v_add_nc_u32_e32 v9, 0x280000, v9
; %bb.8181:                             ;   in Loop: Header=BB0_7082 Depth=1
	s_or_b32 exec_lo, exec_lo, s89
.LBB0_8182:                             ;   in Loop: Header=BB0_7082 Depth=1
	s_and_not1_saveexec_b32 s88, s88
; %bb.8183:                             ;   in Loop: Header=BB0_7082 Depth=1
	s_delay_alu instid0(VALU_DEP_1)
	v_add_nc_u32_e32 v9, 0x2c0000, v9
; %bb.8184:                             ;   in Loop: Header=BB0_7082 Depth=1
	s_or_b32 exec_lo, exec_lo, s88
.LBB0_8185:                             ;   in Loop: Header=BB0_7082 Depth=1
	s_and_not1_saveexec_b32 s87, s87
; %bb.8186:                             ;   in Loop: Header=BB0_7082 Depth=1
	s_delay_alu instid0(VALU_DEP_1)
	v_add_nc_u32_e32 v9, 0x300000, v9
; %bb.8187:                             ;   in Loop: Header=BB0_7082 Depth=1
	s_or_b32 exec_lo, exec_lo, s87
.LBB0_8188:                             ;   in Loop: Header=BB0_7082 Depth=1
	s_and_not1_saveexec_b32 s86, s86
; %bb.8189:                             ;   in Loop: Header=BB0_7082 Depth=1
	s_delay_alu instid0(VALU_DEP_1)
	v_add_nc_u32_e32 v9, 0x340000, v9
; %bb.8190:                             ;   in Loop: Header=BB0_7082 Depth=1
	s_or_b32 exec_lo, exec_lo, s86
.LBB0_8191:                             ;   in Loop: Header=BB0_7082 Depth=1
	s_and_not1_saveexec_b32 s85, s85
; %bb.8192:                             ;   in Loop: Header=BB0_7082 Depth=1
	s_delay_alu instid0(VALU_DEP_1)
	v_add_nc_u32_e32 v9, 0x380000, v9
; %bb.8193:                             ;   in Loop: Header=BB0_7082 Depth=1
	s_or_b32 exec_lo, exec_lo, s85
.LBB0_8194:                             ;   in Loop: Header=BB0_7082 Depth=1
	s_and_not1_saveexec_b32 s84, s84
; %bb.8195:                             ;   in Loop: Header=BB0_7082 Depth=1
	s_delay_alu instid0(VALU_DEP_1)
	v_add_nc_u32_e32 v9, 0x3c0000, v9
; %bb.8196:                             ;   in Loop: Header=BB0_7082 Depth=1
	s_or_b32 exec_lo, exec_lo, s84
.LBB0_8197:                             ;   in Loop: Header=BB0_7082 Depth=1
	s_and_not1_saveexec_b32 s83, s83
; %bb.8198:                             ;   in Loop: Header=BB0_7082 Depth=1
	s_delay_alu instid0(VALU_DEP_1)
	v_add_nc_u32_e32 v9, 0x400000, v9
; %bb.8199:                             ;   in Loop: Header=BB0_7082 Depth=1
	s_or_b32 exec_lo, exec_lo, s83
.LBB0_8200:                             ;   in Loop: Header=BB0_7082 Depth=1
	s_and_not1_saveexec_b32 s82, s82
; %bb.8201:                             ;   in Loop: Header=BB0_7082 Depth=1
	s_delay_alu instid0(VALU_DEP_1)
	v_add_nc_u32_e32 v9, 0x440000, v9
; %bb.8202:                             ;   in Loop: Header=BB0_7082 Depth=1
	s_or_b32 exec_lo, exec_lo, s82
.LBB0_8203:                             ;   in Loop: Header=BB0_7082 Depth=1
	s_and_not1_saveexec_b32 s81, s81
; %bb.8204:                             ;   in Loop: Header=BB0_7082 Depth=1
	s_delay_alu instid0(VALU_DEP_1)
	v_add_nc_u32_e32 v9, 0x480000, v9
; %bb.8205:                             ;   in Loop: Header=BB0_7082 Depth=1
	s_or_b32 exec_lo, exec_lo, s81
.LBB0_8206:                             ;   in Loop: Header=BB0_7082 Depth=1
	s_and_not1_saveexec_b32 s80, s80
; %bb.8207:                             ;   in Loop: Header=BB0_7082 Depth=1
	s_delay_alu instid0(VALU_DEP_1)
	v_add_nc_u32_e32 v9, 0x4c0000, v9
; %bb.8208:                             ;   in Loop: Header=BB0_7082 Depth=1
	s_or_b32 exec_lo, exec_lo, s80
.LBB0_8209:                             ;   in Loop: Header=BB0_7082 Depth=1
	s_and_not1_saveexec_b32 s79, s79
; %bb.8210:                             ;   in Loop: Header=BB0_7082 Depth=1
	s_delay_alu instid0(VALU_DEP_1)
	v_add_nc_u32_e32 v9, 0x500000, v9
; %bb.8211:                             ;   in Loop: Header=BB0_7082 Depth=1
	s_or_b32 exec_lo, exec_lo, s79
.LBB0_8212:                             ;   in Loop: Header=BB0_7082 Depth=1
	s_and_not1_saveexec_b32 s78, s78
; %bb.8213:                             ;   in Loop: Header=BB0_7082 Depth=1
	s_delay_alu instid0(VALU_DEP_1)
	v_add_nc_u32_e32 v9, 0x540000, v9
; %bb.8214:                             ;   in Loop: Header=BB0_7082 Depth=1
	s_or_b32 exec_lo, exec_lo, s78
.LBB0_8215:                             ;   in Loop: Header=BB0_7082 Depth=1
	s_and_not1_saveexec_b32 s77, s77
; %bb.8216:                             ;   in Loop: Header=BB0_7082 Depth=1
	s_delay_alu instid0(VALU_DEP_1)
	v_add_nc_u32_e32 v9, 0x580000, v9
; %bb.8217:                             ;   in Loop: Header=BB0_7082 Depth=1
	s_or_b32 exec_lo, exec_lo, s77
.LBB0_8218:                             ;   in Loop: Header=BB0_7082 Depth=1
	s_and_not1_saveexec_b32 s76, s76
; %bb.8219:                             ;   in Loop: Header=BB0_7082 Depth=1
	s_delay_alu instid0(VALU_DEP_1)
	v_add_nc_u32_e32 v9, 0x5c0000, v9
; %bb.8220:                             ;   in Loop: Header=BB0_7082 Depth=1
	s_or_b32 exec_lo, exec_lo, s76
.LBB0_8221:                             ;   in Loop: Header=BB0_7082 Depth=1
	s_and_not1_saveexec_b32 s75, s75
; %bb.8222:                             ;   in Loop: Header=BB0_7082 Depth=1
	s_delay_alu instid0(VALU_DEP_1)
	v_add_nc_u32_e32 v9, 0x600000, v9
; %bb.8223:                             ;   in Loop: Header=BB0_7082 Depth=1
	s_or_b32 exec_lo, exec_lo, s75
.LBB0_8224:                             ;   in Loop: Header=BB0_7082 Depth=1
	s_and_not1_saveexec_b32 s74, s74
; %bb.8225:                             ;   in Loop: Header=BB0_7082 Depth=1
	s_delay_alu instid0(VALU_DEP_1)
	v_add_nc_u32_e32 v9, 0x640000, v9
; %bb.8226:                             ;   in Loop: Header=BB0_7082 Depth=1
	s_or_b32 exec_lo, exec_lo, s74
.LBB0_8227:                             ;   in Loop: Header=BB0_7082 Depth=1
	s_and_not1_saveexec_b32 s73, s73
; %bb.8228:                             ;   in Loop: Header=BB0_7082 Depth=1
	s_delay_alu instid0(VALU_DEP_1)
	v_add_nc_u32_e32 v9, 0x680000, v9
; %bb.8229:                             ;   in Loop: Header=BB0_7082 Depth=1
	s_or_b32 exec_lo, exec_lo, s73
.LBB0_8230:                             ;   in Loop: Header=BB0_7082 Depth=1
	s_and_not1_saveexec_b32 s72, s72
; %bb.8231:                             ;   in Loop: Header=BB0_7082 Depth=1
	s_delay_alu instid0(VALU_DEP_1)
	v_add_nc_u32_e32 v9, 0x6c0000, v9
; %bb.8232:                             ;   in Loop: Header=BB0_7082 Depth=1
	s_or_b32 exec_lo, exec_lo, s72
.LBB0_8233:                             ;   in Loop: Header=BB0_7082 Depth=1
	s_and_not1_saveexec_b32 s71, s71
; %bb.8234:                             ;   in Loop: Header=BB0_7082 Depth=1
	s_delay_alu instid0(VALU_DEP_1)
	v_add_nc_u32_e32 v9, 0x700000, v9
; %bb.8235:                             ;   in Loop: Header=BB0_7082 Depth=1
	s_or_b32 exec_lo, exec_lo, s71
.LBB0_8236:                             ;   in Loop: Header=BB0_7082 Depth=1
	s_and_not1_saveexec_b32 s70, s70
; %bb.8237:                             ;   in Loop: Header=BB0_7082 Depth=1
	s_delay_alu instid0(VALU_DEP_1)
	v_add_nc_u32_e32 v9, 0x740000, v9
; %bb.8238:                             ;   in Loop: Header=BB0_7082 Depth=1
	s_or_b32 exec_lo, exec_lo, s70
.LBB0_8239:                             ;   in Loop: Header=BB0_7082 Depth=1
	s_and_not1_saveexec_b32 s69, s69
; %bb.8240:                             ;   in Loop: Header=BB0_7082 Depth=1
	s_delay_alu instid0(VALU_DEP_1)
	v_add_nc_u32_e32 v9, 0x780000, v9
; %bb.8241:                             ;   in Loop: Header=BB0_7082 Depth=1
	s_or_b32 exec_lo, exec_lo, s69
.LBB0_8242:                             ;   in Loop: Header=BB0_7082 Depth=1
	s_and_not1_saveexec_b32 s68, s68
; %bb.8243:                             ;   in Loop: Header=BB0_7082 Depth=1
	s_delay_alu instid0(VALU_DEP_1)
	v_add_nc_u32_e32 v9, 0x7c0000, v9
; %bb.8244:                             ;   in Loop: Header=BB0_7082 Depth=1
	s_or_b32 exec_lo, exec_lo, s68
	v_mov_b32_e32 v0, s62
	s_mov_b32 s68, exec_lo
	ds_load_2addr_b64 v[12:15], v0 offset0:33 offset1:34
	ds_load_b64 v[16:17], v0 offset:280
	s_wait_dscnt 0x1
	v_mul_f64_e32 v[0:1], v[4:5], v[14:15]
	s_delay_alu instid0(VALU_DEP_1) | instskip(SKIP_1) | instid1(VALU_DEP_1)
	v_fmac_f64_e32 v[0:1], v[2:3], v[12:13]
	s_wait_dscnt 0x0
	v_fmac_f64_e32 v[0:1], v[6:7], v[16:17]
	s_delay_alu instid0(VALU_DEP_1)
	v_cmpx_ngt_f64_e32 s[60:61], v[0:1]
	s_xor_b32 s68, exec_lo, s68
	s_cbranch_execz .LBB0_8364
; %bb.8245:                             ;   in Loop: Header=BB0_7082 Depth=1
	s_mov_b32 s69, exec_lo
	v_cmpx_ngt_f64_e32 s[66:67], v[0:1]
	s_xor_b32 s69, exec_lo, s69
	s_cbranch_execz .LBB0_8361
; %bb.8246:                             ;   in Loop: Header=BB0_7082 Depth=1
	s_mov_b32 s70, exec_lo
	;; [unrolled: 5-line block ×30, first 2 shown]
	v_cmpx_gt_f64_e32 s[36:37], v[0:1]
; %bb.8275:                             ;   in Loop: Header=BB0_7082 Depth=1
	v_add_nc_u32_e32 v9, 0x4000000, v9
; %bb.8276:                             ;   in Loop: Header=BB0_7082 Depth=1
	s_or_b32 exec_lo, exec_lo, s98
.LBB0_8277:                             ;   in Loop: Header=BB0_7082 Depth=1
	s_and_not1_saveexec_b32 s97, s97
; %bb.8278:                             ;   in Loop: Header=BB0_7082 Depth=1
	s_delay_alu instid0(VALU_DEP_1)
	v_add_nc_u32_e32 v9, 0x8000000, v9
; %bb.8279:                             ;   in Loop: Header=BB0_7082 Depth=1
	s_or_b32 exec_lo, exec_lo, s97
.LBB0_8280:                             ;   in Loop: Header=BB0_7082 Depth=1
	s_and_not1_saveexec_b32 s96, s96
; %bb.8281:                             ;   in Loop: Header=BB0_7082 Depth=1
	s_delay_alu instid0(VALU_DEP_1)
	v_add_nc_u32_e32 v9, 0xc000000, v9
; %bb.8282:                             ;   in Loop: Header=BB0_7082 Depth=1
	s_or_b32 exec_lo, exec_lo, s96
.LBB0_8283:                             ;   in Loop: Header=BB0_7082 Depth=1
	s_and_not1_saveexec_b32 s95, s95
; %bb.8284:                             ;   in Loop: Header=BB0_7082 Depth=1
	s_delay_alu instid0(VALU_DEP_1)
	v_add_nc_u32_e32 v9, 0x10000000, v9
; %bb.8285:                             ;   in Loop: Header=BB0_7082 Depth=1
	s_or_b32 exec_lo, exec_lo, s95
.LBB0_8286:                             ;   in Loop: Header=BB0_7082 Depth=1
	s_and_not1_saveexec_b32 s94, s94
; %bb.8287:                             ;   in Loop: Header=BB0_7082 Depth=1
	s_delay_alu instid0(VALU_DEP_1)
	v_add_nc_u32_e32 v9, 0x14000000, v9
; %bb.8288:                             ;   in Loop: Header=BB0_7082 Depth=1
	s_or_b32 exec_lo, exec_lo, s94
.LBB0_8289:                             ;   in Loop: Header=BB0_7082 Depth=1
	s_and_not1_saveexec_b32 s93, s93
; %bb.8290:                             ;   in Loop: Header=BB0_7082 Depth=1
	s_delay_alu instid0(VALU_DEP_1)
	v_add_nc_u32_e32 v9, 0x18000000, v9
; %bb.8291:                             ;   in Loop: Header=BB0_7082 Depth=1
	s_or_b32 exec_lo, exec_lo, s93
.LBB0_8292:                             ;   in Loop: Header=BB0_7082 Depth=1
	s_and_not1_saveexec_b32 s92, s92
; %bb.8293:                             ;   in Loop: Header=BB0_7082 Depth=1
	s_delay_alu instid0(VALU_DEP_1)
	v_add_nc_u32_e32 v9, 0x1c000000, v9
; %bb.8294:                             ;   in Loop: Header=BB0_7082 Depth=1
	s_or_b32 exec_lo, exec_lo, s92
.LBB0_8295:                             ;   in Loop: Header=BB0_7082 Depth=1
	s_and_not1_saveexec_b32 s91, s91
; %bb.8296:                             ;   in Loop: Header=BB0_7082 Depth=1
	s_delay_alu instid0(VALU_DEP_1)
	v_add_nc_u32_e32 v9, 0x20000000, v9
; %bb.8297:                             ;   in Loop: Header=BB0_7082 Depth=1
	s_or_b32 exec_lo, exec_lo, s91
.LBB0_8298:                             ;   in Loop: Header=BB0_7082 Depth=1
	s_and_not1_saveexec_b32 s90, s90
; %bb.8299:                             ;   in Loop: Header=BB0_7082 Depth=1
	s_delay_alu instid0(VALU_DEP_1)
	v_add_nc_u32_e32 v9, 0x24000000, v9
; %bb.8300:                             ;   in Loop: Header=BB0_7082 Depth=1
	s_or_b32 exec_lo, exec_lo, s90
.LBB0_8301:                             ;   in Loop: Header=BB0_7082 Depth=1
	s_and_not1_saveexec_b32 s89, s89
; %bb.8302:                             ;   in Loop: Header=BB0_7082 Depth=1
	s_delay_alu instid0(VALU_DEP_1)
	v_add_nc_u32_e32 v9, 0x28000000, v9
; %bb.8303:                             ;   in Loop: Header=BB0_7082 Depth=1
	s_or_b32 exec_lo, exec_lo, s89
.LBB0_8304:                             ;   in Loop: Header=BB0_7082 Depth=1
	s_and_not1_saveexec_b32 s88, s88
; %bb.8305:                             ;   in Loop: Header=BB0_7082 Depth=1
	s_delay_alu instid0(VALU_DEP_1)
	v_add_nc_u32_e32 v9, 0x2c000000, v9
; %bb.8306:                             ;   in Loop: Header=BB0_7082 Depth=1
	s_or_b32 exec_lo, exec_lo, s88
.LBB0_8307:                             ;   in Loop: Header=BB0_7082 Depth=1
	s_and_not1_saveexec_b32 s87, s87
; %bb.8308:                             ;   in Loop: Header=BB0_7082 Depth=1
	s_delay_alu instid0(VALU_DEP_1)
	v_add_nc_u32_e32 v9, 0x30000000, v9
; %bb.8309:                             ;   in Loop: Header=BB0_7082 Depth=1
	s_or_b32 exec_lo, exec_lo, s87
.LBB0_8310:                             ;   in Loop: Header=BB0_7082 Depth=1
	s_and_not1_saveexec_b32 s86, s86
; %bb.8311:                             ;   in Loop: Header=BB0_7082 Depth=1
	s_delay_alu instid0(VALU_DEP_1)
	v_add_nc_u32_e32 v9, 0x34000000, v9
; %bb.8312:                             ;   in Loop: Header=BB0_7082 Depth=1
	s_or_b32 exec_lo, exec_lo, s86
.LBB0_8313:                             ;   in Loop: Header=BB0_7082 Depth=1
	s_and_not1_saveexec_b32 s85, s85
; %bb.8314:                             ;   in Loop: Header=BB0_7082 Depth=1
	s_delay_alu instid0(VALU_DEP_1)
	v_add_nc_u32_e32 v9, 0x38000000, v9
; %bb.8315:                             ;   in Loop: Header=BB0_7082 Depth=1
	s_or_b32 exec_lo, exec_lo, s85
.LBB0_8316:                             ;   in Loop: Header=BB0_7082 Depth=1
	s_and_not1_saveexec_b32 s84, s84
; %bb.8317:                             ;   in Loop: Header=BB0_7082 Depth=1
	s_delay_alu instid0(VALU_DEP_1)
	v_add_nc_u32_e32 v9, 0x3c000000, v9
; %bb.8318:                             ;   in Loop: Header=BB0_7082 Depth=1
	s_or_b32 exec_lo, exec_lo, s84
.LBB0_8319:                             ;   in Loop: Header=BB0_7082 Depth=1
	s_and_not1_saveexec_b32 s83, s83
; %bb.8320:                             ;   in Loop: Header=BB0_7082 Depth=1
	s_delay_alu instid0(VALU_DEP_1)
	v_add_nc_u32_e32 v9, 2.0, v9
; %bb.8321:                             ;   in Loop: Header=BB0_7082 Depth=1
	s_or_b32 exec_lo, exec_lo, s83
.LBB0_8322:                             ;   in Loop: Header=BB0_7082 Depth=1
	s_and_not1_saveexec_b32 s82, s82
; %bb.8323:                             ;   in Loop: Header=BB0_7082 Depth=1
	s_delay_alu instid0(VALU_DEP_1)
	v_add_nc_u32_e32 v9, 0x44000000, v9
; %bb.8324:                             ;   in Loop: Header=BB0_7082 Depth=1
	s_or_b32 exec_lo, exec_lo, s82
.LBB0_8325:                             ;   in Loop: Header=BB0_7082 Depth=1
	s_and_not1_saveexec_b32 s81, s81
; %bb.8326:                             ;   in Loop: Header=BB0_7082 Depth=1
	s_delay_alu instid0(VALU_DEP_1)
	v_add_nc_u32_e32 v9, 0x48000000, v9
; %bb.8327:                             ;   in Loop: Header=BB0_7082 Depth=1
	s_or_b32 exec_lo, exec_lo, s81
.LBB0_8328:                             ;   in Loop: Header=BB0_7082 Depth=1
	s_and_not1_saveexec_b32 s80, s80
; %bb.8329:                             ;   in Loop: Header=BB0_7082 Depth=1
	s_delay_alu instid0(VALU_DEP_1)
	v_add_nc_u32_e32 v9, 0x4c000000, v9
; %bb.8330:                             ;   in Loop: Header=BB0_7082 Depth=1
	s_or_b32 exec_lo, exec_lo, s80
.LBB0_8331:                             ;   in Loop: Header=BB0_7082 Depth=1
	s_and_not1_saveexec_b32 s79, s79
; %bb.8332:                             ;   in Loop: Header=BB0_7082 Depth=1
	s_delay_alu instid0(VALU_DEP_1)
	v_add_nc_u32_e32 v9, 0x50000000, v9
; %bb.8333:                             ;   in Loop: Header=BB0_7082 Depth=1
	s_or_b32 exec_lo, exec_lo, s79
.LBB0_8334:                             ;   in Loop: Header=BB0_7082 Depth=1
	s_and_not1_saveexec_b32 s78, s78
; %bb.8335:                             ;   in Loop: Header=BB0_7082 Depth=1
	s_delay_alu instid0(VALU_DEP_1)
	v_add_nc_u32_e32 v9, 0x54000000, v9
; %bb.8336:                             ;   in Loop: Header=BB0_7082 Depth=1
	s_or_b32 exec_lo, exec_lo, s78
.LBB0_8337:                             ;   in Loop: Header=BB0_7082 Depth=1
	s_and_not1_saveexec_b32 s77, s77
; %bb.8338:                             ;   in Loop: Header=BB0_7082 Depth=1
	s_delay_alu instid0(VALU_DEP_1)
	v_add_nc_u32_e32 v9, 0x58000000, v9
; %bb.8339:                             ;   in Loop: Header=BB0_7082 Depth=1
	s_or_b32 exec_lo, exec_lo, s77
.LBB0_8340:                             ;   in Loop: Header=BB0_7082 Depth=1
	s_and_not1_saveexec_b32 s76, s76
; %bb.8341:                             ;   in Loop: Header=BB0_7082 Depth=1
	s_delay_alu instid0(VALU_DEP_1)
	v_add_nc_u32_e32 v9, 0x5c000000, v9
; %bb.8342:                             ;   in Loop: Header=BB0_7082 Depth=1
	s_or_b32 exec_lo, exec_lo, s76
.LBB0_8343:                             ;   in Loop: Header=BB0_7082 Depth=1
	s_and_not1_saveexec_b32 s75, s75
; %bb.8344:                             ;   in Loop: Header=BB0_7082 Depth=1
	s_delay_alu instid0(VALU_DEP_1)
	v_add_nc_u32_e32 v9, 0x60000000, v9
; %bb.8345:                             ;   in Loop: Header=BB0_7082 Depth=1
	s_or_b32 exec_lo, exec_lo, s75
.LBB0_8346:                             ;   in Loop: Header=BB0_7082 Depth=1
	s_and_not1_saveexec_b32 s74, s74
; %bb.8347:                             ;   in Loop: Header=BB0_7082 Depth=1
	s_delay_alu instid0(VALU_DEP_1)
	v_add_nc_u32_e32 v9, 0x64000000, v9
; %bb.8348:                             ;   in Loop: Header=BB0_7082 Depth=1
	s_or_b32 exec_lo, exec_lo, s74
.LBB0_8349:                             ;   in Loop: Header=BB0_7082 Depth=1
	s_and_not1_saveexec_b32 s73, s73
; %bb.8350:                             ;   in Loop: Header=BB0_7082 Depth=1
	s_delay_alu instid0(VALU_DEP_1)
	v_add_nc_u32_e32 v9, 0x68000000, v9
; %bb.8351:                             ;   in Loop: Header=BB0_7082 Depth=1
	s_or_b32 exec_lo, exec_lo, s73
.LBB0_8352:                             ;   in Loop: Header=BB0_7082 Depth=1
	s_and_not1_saveexec_b32 s72, s72
; %bb.8353:                             ;   in Loop: Header=BB0_7082 Depth=1
	s_delay_alu instid0(VALU_DEP_1)
	v_add_nc_u32_e32 v9, 0x6c000000, v9
; %bb.8354:                             ;   in Loop: Header=BB0_7082 Depth=1
	s_or_b32 exec_lo, exec_lo, s72
.LBB0_8355:                             ;   in Loop: Header=BB0_7082 Depth=1
	s_and_not1_saveexec_b32 s71, s71
; %bb.8356:                             ;   in Loop: Header=BB0_7082 Depth=1
	s_delay_alu instid0(VALU_DEP_1)
	v_add_nc_u32_e32 v9, 0x70000000, v9
; %bb.8357:                             ;   in Loop: Header=BB0_7082 Depth=1
	s_or_b32 exec_lo, exec_lo, s71
.LBB0_8358:                             ;   in Loop: Header=BB0_7082 Depth=1
	s_and_not1_saveexec_b32 s70, s70
; %bb.8359:                             ;   in Loop: Header=BB0_7082 Depth=1
	s_delay_alu instid0(VALU_DEP_1)
	v_add_nc_u32_e32 v9, 0x74000000, v9
; %bb.8360:                             ;   in Loop: Header=BB0_7082 Depth=1
	s_or_b32 exec_lo, exec_lo, s70
.LBB0_8361:                             ;   in Loop: Header=BB0_7082 Depth=1
	s_and_not1_saveexec_b32 s69, s69
; %bb.8362:                             ;   in Loop: Header=BB0_7082 Depth=1
	s_delay_alu instid0(VALU_DEP_1)
	v_add_nc_u32_e32 v9, 0x78000000, v9
; %bb.8363:                             ;   in Loop: Header=BB0_7082 Depth=1
	s_or_b32 exec_lo, exec_lo, s69
.LBB0_8364:                             ;   in Loop: Header=BB0_7082 Depth=1
	s_and_not1_saveexec_b32 s68, s68
; %bb.8365:                             ;   in Loop: Header=BB0_7082 Depth=1
	s_delay_alu instid0(VALU_DEP_1)
	v_add_nc_u32_e32 v9, 0x7c000000, v9
; %bb.8366:                             ;   in Loop: Header=BB0_7082 Depth=1
	s_or_b32 exec_lo, exec_lo, s68
	v_mov_b32_e32 v0, s62
	v_add3_u32 v11, v10, s63, 0x8000
	v_mov_b32_e32 v8, 0x7c
	s_mov_b32 s68, exec_lo
	ds_load_2addr_b64 v[12:15], v0 offset0:36 offset1:37
	ds_load_b64 v[16:17], v0 offset:304
	global_store_b32 v11, v9, s[34:35] scale_offset
	s_wait_dscnt 0x1
	v_mul_f64_e32 v[0:1], v[4:5], v[14:15]
	s_delay_alu instid0(VALU_DEP_1) | instskip(SKIP_1) | instid1(VALU_DEP_1)
	v_fmac_f64_e32 v[0:1], v[2:3], v[12:13]
	s_wait_dscnt 0x0
	v_fmac_f64_e32 v[0:1], v[6:7], v[16:17]
	s_wait_xcnt 0x0
	s_delay_alu instid0(VALU_DEP_1)
	v_cmpx_ngt_f64_e32 s[60:61], v[0:1]
	s_cbranch_execz .LBB0_8428
; %bb.8367:                             ;   in Loop: Header=BB0_7082 Depth=1
	v_mov_b32_e32 v8, 0x78
	s_mov_b32 s69, exec_lo
	v_cmpx_ngt_f64_e32 s[66:67], v[0:1]
	s_cbranch_execz .LBB0_8427
; %bb.8368:                             ;   in Loop: Header=BB0_7082 Depth=1
	v_mov_b32_e32 v8, 0x74
	s_mov_b32 s70, exec_lo
	;; [unrolled: 5-line block ×30, first 2 shown]
	v_cmpx_gt_f64_e32 s[36:37], v[0:1]
; %bb.8397:                             ;   in Loop: Header=BB0_7082 Depth=1
	v_mov_b32_e32 v8, 4
; %bb.8398:                             ;   in Loop: Header=BB0_7082 Depth=1
	s_or_b32 exec_lo, exec_lo, s98
.LBB0_8399:                             ;   in Loop: Header=BB0_7082 Depth=1
	s_delay_alu instid0(SALU_CYCLE_1)
	s_or_b32 exec_lo, exec_lo, s97
.LBB0_8400:                             ;   in Loop: Header=BB0_7082 Depth=1
	s_delay_alu instid0(SALU_CYCLE_1)
	s_or_b32 exec_lo, exec_lo, s96
.LBB0_8401:                             ;   in Loop: Header=BB0_7082 Depth=1
	s_delay_alu instid0(SALU_CYCLE_1)
	s_or_b32 exec_lo, exec_lo, s95
.LBB0_8402:                             ;   in Loop: Header=BB0_7082 Depth=1
	s_delay_alu instid0(SALU_CYCLE_1)
	s_or_b32 exec_lo, exec_lo, s94
.LBB0_8403:                             ;   in Loop: Header=BB0_7082 Depth=1
	s_delay_alu instid0(SALU_CYCLE_1)
	s_or_b32 exec_lo, exec_lo, s93
.LBB0_8404:                             ;   in Loop: Header=BB0_7082 Depth=1
	s_delay_alu instid0(SALU_CYCLE_1)
	s_or_b32 exec_lo, exec_lo, s92
.LBB0_8405:                             ;   in Loop: Header=BB0_7082 Depth=1
	s_delay_alu instid0(SALU_CYCLE_1)
	s_or_b32 exec_lo, exec_lo, s91
.LBB0_8406:                             ;   in Loop: Header=BB0_7082 Depth=1
	s_delay_alu instid0(SALU_CYCLE_1)
	s_or_b32 exec_lo, exec_lo, s90
.LBB0_8407:                             ;   in Loop: Header=BB0_7082 Depth=1
	s_delay_alu instid0(SALU_CYCLE_1)
	s_or_b32 exec_lo, exec_lo, s89
.LBB0_8408:                             ;   in Loop: Header=BB0_7082 Depth=1
	s_delay_alu instid0(SALU_CYCLE_1)
	s_or_b32 exec_lo, exec_lo, s88
.LBB0_8409:                             ;   in Loop: Header=BB0_7082 Depth=1
	s_delay_alu instid0(SALU_CYCLE_1)
	s_or_b32 exec_lo, exec_lo, s87
.LBB0_8410:                             ;   in Loop: Header=BB0_7082 Depth=1
	s_delay_alu instid0(SALU_CYCLE_1)
	s_or_b32 exec_lo, exec_lo, s86
.LBB0_8411:                             ;   in Loop: Header=BB0_7082 Depth=1
	s_delay_alu instid0(SALU_CYCLE_1)
	s_or_b32 exec_lo, exec_lo, s85
.LBB0_8412:                             ;   in Loop: Header=BB0_7082 Depth=1
	s_delay_alu instid0(SALU_CYCLE_1)
	s_or_b32 exec_lo, exec_lo, s84
.LBB0_8413:                             ;   in Loop: Header=BB0_7082 Depth=1
	s_delay_alu instid0(SALU_CYCLE_1)
	s_or_b32 exec_lo, exec_lo, s83
.LBB0_8414:                             ;   in Loop: Header=BB0_7082 Depth=1
	s_delay_alu instid0(SALU_CYCLE_1)
	s_or_b32 exec_lo, exec_lo, s82
.LBB0_8415:                             ;   in Loop: Header=BB0_7082 Depth=1
	s_delay_alu instid0(SALU_CYCLE_1)
	s_or_b32 exec_lo, exec_lo, s81
.LBB0_8416:                             ;   in Loop: Header=BB0_7082 Depth=1
	s_delay_alu instid0(SALU_CYCLE_1)
	s_or_b32 exec_lo, exec_lo, s80
.LBB0_8417:                             ;   in Loop: Header=BB0_7082 Depth=1
	s_delay_alu instid0(SALU_CYCLE_1)
	s_or_b32 exec_lo, exec_lo, s79
.LBB0_8418:                             ;   in Loop: Header=BB0_7082 Depth=1
	s_delay_alu instid0(SALU_CYCLE_1)
	s_or_b32 exec_lo, exec_lo, s78
.LBB0_8419:                             ;   in Loop: Header=BB0_7082 Depth=1
	s_delay_alu instid0(SALU_CYCLE_1)
	s_or_b32 exec_lo, exec_lo, s77
.LBB0_8420:                             ;   in Loop: Header=BB0_7082 Depth=1
	s_delay_alu instid0(SALU_CYCLE_1)
	s_or_b32 exec_lo, exec_lo, s76
.LBB0_8421:                             ;   in Loop: Header=BB0_7082 Depth=1
	s_delay_alu instid0(SALU_CYCLE_1)
	s_or_b32 exec_lo, exec_lo, s75
.LBB0_8422:                             ;   in Loop: Header=BB0_7082 Depth=1
	s_delay_alu instid0(SALU_CYCLE_1)
	s_or_b32 exec_lo, exec_lo, s74
.LBB0_8423:                             ;   in Loop: Header=BB0_7082 Depth=1
	s_delay_alu instid0(SALU_CYCLE_1)
	s_or_b32 exec_lo, exec_lo, s73
.LBB0_8424:                             ;   in Loop: Header=BB0_7082 Depth=1
	s_delay_alu instid0(SALU_CYCLE_1)
	s_or_b32 exec_lo, exec_lo, s72
.LBB0_8425:                             ;   in Loop: Header=BB0_7082 Depth=1
	s_delay_alu instid0(SALU_CYCLE_1)
	s_or_b32 exec_lo, exec_lo, s71
.LBB0_8426:                             ;   in Loop: Header=BB0_7082 Depth=1
	s_delay_alu instid0(SALU_CYCLE_1)
	s_or_b32 exec_lo, exec_lo, s70
.LBB0_8427:                             ;   in Loop: Header=BB0_7082 Depth=1
	s_delay_alu instid0(SALU_CYCLE_1)
	s_or_b32 exec_lo, exec_lo, s69
.LBB0_8428:                             ;   in Loop: Header=BB0_7082 Depth=1
	s_delay_alu instid0(SALU_CYCLE_1)
	s_or_b32 exec_lo, exec_lo, s68
	v_mov_b32_e32 v0, s62
	s_mov_b32 s68, exec_lo
	ds_load_2addr_b64 v[12:15], v0 offset0:39 offset1:40
	ds_load_b64 v[16:17], v0 offset:328
	s_wait_dscnt 0x1
	v_mul_f64_e32 v[0:1], v[4:5], v[14:15]
	s_delay_alu instid0(VALU_DEP_1) | instskip(SKIP_1) | instid1(VALU_DEP_1)
	v_fmac_f64_e32 v[0:1], v[2:3], v[12:13]
	s_wait_dscnt 0x0
	v_fmac_f64_e32 v[0:1], v[6:7], v[16:17]
	s_delay_alu instid0(VALU_DEP_1)
	v_cmpx_ngt_f64_e32 s[60:61], v[0:1]
	s_xor_b32 s68, exec_lo, s68
	s_cbranch_execz .LBB0_8548
; %bb.8429:                             ;   in Loop: Header=BB0_7082 Depth=1
	s_mov_b32 s69, exec_lo
	v_cmpx_ngt_f64_e32 s[66:67], v[0:1]
	s_xor_b32 s69, exec_lo, s69
	s_cbranch_execz .LBB0_8545
; %bb.8430:                             ;   in Loop: Header=BB0_7082 Depth=1
	s_mov_b32 s70, exec_lo
	;; [unrolled: 5-line block ×30, first 2 shown]
	v_cmpx_gt_f64_e32 s[36:37], v[0:1]
; %bb.8459:                             ;   in Loop: Header=BB0_7082 Depth=1
	v_or_b32_e32 v8, 0x400, v8
; %bb.8460:                             ;   in Loop: Header=BB0_7082 Depth=1
	s_or_b32 exec_lo, exec_lo, s98
.LBB0_8461:                             ;   in Loop: Header=BB0_7082 Depth=1
	s_and_not1_saveexec_b32 s97, s97
; %bb.8462:                             ;   in Loop: Header=BB0_7082 Depth=1
	s_delay_alu instid0(VALU_DEP_1)
	v_or_b32_e32 v8, 0x800, v8
; %bb.8463:                             ;   in Loop: Header=BB0_7082 Depth=1
	s_or_b32 exec_lo, exec_lo, s97
.LBB0_8464:                             ;   in Loop: Header=BB0_7082 Depth=1
	s_and_not1_saveexec_b32 s96, s96
; %bb.8465:                             ;   in Loop: Header=BB0_7082 Depth=1
	s_delay_alu instid0(VALU_DEP_1)
	v_or_b32_e32 v8, 0xc00, v8
; %bb.8466:                             ;   in Loop: Header=BB0_7082 Depth=1
	s_or_b32 exec_lo, exec_lo, s96
.LBB0_8467:                             ;   in Loop: Header=BB0_7082 Depth=1
	s_and_not1_saveexec_b32 s95, s95
; %bb.8468:                             ;   in Loop: Header=BB0_7082 Depth=1
	s_delay_alu instid0(VALU_DEP_1)
	v_or_b32_e32 v8, 0x1000, v8
; %bb.8469:                             ;   in Loop: Header=BB0_7082 Depth=1
	s_or_b32 exec_lo, exec_lo, s95
.LBB0_8470:                             ;   in Loop: Header=BB0_7082 Depth=1
	s_and_not1_saveexec_b32 s94, s94
; %bb.8471:                             ;   in Loop: Header=BB0_7082 Depth=1
	s_delay_alu instid0(VALU_DEP_1)
	v_or_b32_e32 v8, 0x1400, v8
; %bb.8472:                             ;   in Loop: Header=BB0_7082 Depth=1
	s_or_b32 exec_lo, exec_lo, s94
.LBB0_8473:                             ;   in Loop: Header=BB0_7082 Depth=1
	s_and_not1_saveexec_b32 s93, s93
; %bb.8474:                             ;   in Loop: Header=BB0_7082 Depth=1
	s_delay_alu instid0(VALU_DEP_1)
	v_or_b32_e32 v8, 0x1800, v8
; %bb.8475:                             ;   in Loop: Header=BB0_7082 Depth=1
	s_or_b32 exec_lo, exec_lo, s93
.LBB0_8476:                             ;   in Loop: Header=BB0_7082 Depth=1
	s_and_not1_saveexec_b32 s92, s92
; %bb.8477:                             ;   in Loop: Header=BB0_7082 Depth=1
	s_delay_alu instid0(VALU_DEP_1)
	v_or_b32_e32 v8, 0x1c00, v8
; %bb.8478:                             ;   in Loop: Header=BB0_7082 Depth=1
	s_or_b32 exec_lo, exec_lo, s92
.LBB0_8479:                             ;   in Loop: Header=BB0_7082 Depth=1
	s_and_not1_saveexec_b32 s91, s91
; %bb.8480:                             ;   in Loop: Header=BB0_7082 Depth=1
	s_delay_alu instid0(VALU_DEP_1)
	v_or_b32_e32 v8, 0x2000, v8
; %bb.8481:                             ;   in Loop: Header=BB0_7082 Depth=1
	s_or_b32 exec_lo, exec_lo, s91
.LBB0_8482:                             ;   in Loop: Header=BB0_7082 Depth=1
	s_and_not1_saveexec_b32 s90, s90
; %bb.8483:                             ;   in Loop: Header=BB0_7082 Depth=1
	s_delay_alu instid0(VALU_DEP_1)
	v_or_b32_e32 v8, 0x2400, v8
; %bb.8484:                             ;   in Loop: Header=BB0_7082 Depth=1
	s_or_b32 exec_lo, exec_lo, s90
.LBB0_8485:                             ;   in Loop: Header=BB0_7082 Depth=1
	s_and_not1_saveexec_b32 s89, s89
; %bb.8486:                             ;   in Loop: Header=BB0_7082 Depth=1
	s_delay_alu instid0(VALU_DEP_1)
	v_or_b32_e32 v8, 0x2800, v8
; %bb.8487:                             ;   in Loop: Header=BB0_7082 Depth=1
	s_or_b32 exec_lo, exec_lo, s89
.LBB0_8488:                             ;   in Loop: Header=BB0_7082 Depth=1
	s_and_not1_saveexec_b32 s88, s88
; %bb.8489:                             ;   in Loop: Header=BB0_7082 Depth=1
	s_delay_alu instid0(VALU_DEP_1)
	v_or_b32_e32 v8, 0x2c00, v8
; %bb.8490:                             ;   in Loop: Header=BB0_7082 Depth=1
	s_or_b32 exec_lo, exec_lo, s88
.LBB0_8491:                             ;   in Loop: Header=BB0_7082 Depth=1
	s_and_not1_saveexec_b32 s87, s87
; %bb.8492:                             ;   in Loop: Header=BB0_7082 Depth=1
	s_delay_alu instid0(VALU_DEP_1)
	v_or_b32_e32 v8, 0x3000, v8
; %bb.8493:                             ;   in Loop: Header=BB0_7082 Depth=1
	s_or_b32 exec_lo, exec_lo, s87
.LBB0_8494:                             ;   in Loop: Header=BB0_7082 Depth=1
	s_and_not1_saveexec_b32 s86, s86
; %bb.8495:                             ;   in Loop: Header=BB0_7082 Depth=1
	s_delay_alu instid0(VALU_DEP_1)
	v_or_b32_e32 v8, 0x3400, v8
; %bb.8496:                             ;   in Loop: Header=BB0_7082 Depth=1
	s_or_b32 exec_lo, exec_lo, s86
.LBB0_8497:                             ;   in Loop: Header=BB0_7082 Depth=1
	s_and_not1_saveexec_b32 s85, s85
; %bb.8498:                             ;   in Loop: Header=BB0_7082 Depth=1
	s_delay_alu instid0(VALU_DEP_1)
	v_or_b32_e32 v8, 0x3800, v8
; %bb.8499:                             ;   in Loop: Header=BB0_7082 Depth=1
	s_or_b32 exec_lo, exec_lo, s85
.LBB0_8500:                             ;   in Loop: Header=BB0_7082 Depth=1
	s_and_not1_saveexec_b32 s84, s84
; %bb.8501:                             ;   in Loop: Header=BB0_7082 Depth=1
	s_delay_alu instid0(VALU_DEP_1)
	v_or_b32_e32 v8, 0x3c00, v8
; %bb.8502:                             ;   in Loop: Header=BB0_7082 Depth=1
	s_or_b32 exec_lo, exec_lo, s84
.LBB0_8503:                             ;   in Loop: Header=BB0_7082 Depth=1
	s_and_not1_saveexec_b32 s83, s83
; %bb.8504:                             ;   in Loop: Header=BB0_7082 Depth=1
	s_delay_alu instid0(VALU_DEP_1)
	v_or_b32_e32 v8, 0x4000, v8
; %bb.8505:                             ;   in Loop: Header=BB0_7082 Depth=1
	s_or_b32 exec_lo, exec_lo, s83
.LBB0_8506:                             ;   in Loop: Header=BB0_7082 Depth=1
	s_and_not1_saveexec_b32 s82, s82
; %bb.8507:                             ;   in Loop: Header=BB0_7082 Depth=1
	s_delay_alu instid0(VALU_DEP_1)
	v_or_b32_e32 v8, 0x4400, v8
; %bb.8508:                             ;   in Loop: Header=BB0_7082 Depth=1
	s_or_b32 exec_lo, exec_lo, s82
.LBB0_8509:                             ;   in Loop: Header=BB0_7082 Depth=1
	s_and_not1_saveexec_b32 s81, s81
; %bb.8510:                             ;   in Loop: Header=BB0_7082 Depth=1
	s_delay_alu instid0(VALU_DEP_1)
	v_or_b32_e32 v8, 0x4800, v8
; %bb.8511:                             ;   in Loop: Header=BB0_7082 Depth=1
	s_or_b32 exec_lo, exec_lo, s81
.LBB0_8512:                             ;   in Loop: Header=BB0_7082 Depth=1
	s_and_not1_saveexec_b32 s80, s80
; %bb.8513:                             ;   in Loop: Header=BB0_7082 Depth=1
	s_delay_alu instid0(VALU_DEP_1)
	v_or_b32_e32 v8, 0x4c00, v8
; %bb.8514:                             ;   in Loop: Header=BB0_7082 Depth=1
	s_or_b32 exec_lo, exec_lo, s80
.LBB0_8515:                             ;   in Loop: Header=BB0_7082 Depth=1
	s_and_not1_saveexec_b32 s79, s79
; %bb.8516:                             ;   in Loop: Header=BB0_7082 Depth=1
	s_delay_alu instid0(VALU_DEP_1)
	v_or_b32_e32 v8, 0x5000, v8
; %bb.8517:                             ;   in Loop: Header=BB0_7082 Depth=1
	s_or_b32 exec_lo, exec_lo, s79
.LBB0_8518:                             ;   in Loop: Header=BB0_7082 Depth=1
	s_and_not1_saveexec_b32 s78, s78
; %bb.8519:                             ;   in Loop: Header=BB0_7082 Depth=1
	s_delay_alu instid0(VALU_DEP_1)
	v_or_b32_e32 v8, 0x5400, v8
; %bb.8520:                             ;   in Loop: Header=BB0_7082 Depth=1
	s_or_b32 exec_lo, exec_lo, s78
.LBB0_8521:                             ;   in Loop: Header=BB0_7082 Depth=1
	s_and_not1_saveexec_b32 s77, s77
; %bb.8522:                             ;   in Loop: Header=BB0_7082 Depth=1
	s_delay_alu instid0(VALU_DEP_1)
	v_or_b32_e32 v8, 0x5800, v8
; %bb.8523:                             ;   in Loop: Header=BB0_7082 Depth=1
	s_or_b32 exec_lo, exec_lo, s77
.LBB0_8524:                             ;   in Loop: Header=BB0_7082 Depth=1
	s_and_not1_saveexec_b32 s76, s76
; %bb.8525:                             ;   in Loop: Header=BB0_7082 Depth=1
	s_delay_alu instid0(VALU_DEP_1)
	v_or_b32_e32 v8, 0x5c00, v8
; %bb.8526:                             ;   in Loop: Header=BB0_7082 Depth=1
	s_or_b32 exec_lo, exec_lo, s76
.LBB0_8527:                             ;   in Loop: Header=BB0_7082 Depth=1
	s_and_not1_saveexec_b32 s75, s75
; %bb.8528:                             ;   in Loop: Header=BB0_7082 Depth=1
	s_delay_alu instid0(VALU_DEP_1)
	v_or_b32_e32 v8, 0x6000, v8
; %bb.8529:                             ;   in Loop: Header=BB0_7082 Depth=1
	s_or_b32 exec_lo, exec_lo, s75
.LBB0_8530:                             ;   in Loop: Header=BB0_7082 Depth=1
	s_and_not1_saveexec_b32 s74, s74
; %bb.8531:                             ;   in Loop: Header=BB0_7082 Depth=1
	s_delay_alu instid0(VALU_DEP_1)
	v_or_b32_e32 v8, 0x6400, v8
; %bb.8532:                             ;   in Loop: Header=BB0_7082 Depth=1
	s_or_b32 exec_lo, exec_lo, s74
.LBB0_8533:                             ;   in Loop: Header=BB0_7082 Depth=1
	s_and_not1_saveexec_b32 s73, s73
; %bb.8534:                             ;   in Loop: Header=BB0_7082 Depth=1
	s_delay_alu instid0(VALU_DEP_1)
	v_or_b32_e32 v8, 0x6800, v8
; %bb.8535:                             ;   in Loop: Header=BB0_7082 Depth=1
	s_or_b32 exec_lo, exec_lo, s73
.LBB0_8536:                             ;   in Loop: Header=BB0_7082 Depth=1
	s_and_not1_saveexec_b32 s72, s72
; %bb.8537:                             ;   in Loop: Header=BB0_7082 Depth=1
	s_delay_alu instid0(VALU_DEP_1)
	v_or_b32_e32 v8, 0x6c00, v8
; %bb.8538:                             ;   in Loop: Header=BB0_7082 Depth=1
	s_or_b32 exec_lo, exec_lo, s72
.LBB0_8539:                             ;   in Loop: Header=BB0_7082 Depth=1
	s_and_not1_saveexec_b32 s71, s71
; %bb.8540:                             ;   in Loop: Header=BB0_7082 Depth=1
	s_delay_alu instid0(VALU_DEP_1)
	v_or_b32_e32 v8, 0x7000, v8
; %bb.8541:                             ;   in Loop: Header=BB0_7082 Depth=1
	s_or_b32 exec_lo, exec_lo, s71
.LBB0_8542:                             ;   in Loop: Header=BB0_7082 Depth=1
	s_and_not1_saveexec_b32 s70, s70
; %bb.8543:                             ;   in Loop: Header=BB0_7082 Depth=1
	s_delay_alu instid0(VALU_DEP_1)
	v_or_b32_e32 v8, 0x7400, v8
; %bb.8544:                             ;   in Loop: Header=BB0_7082 Depth=1
	s_or_b32 exec_lo, exec_lo, s70
.LBB0_8545:                             ;   in Loop: Header=BB0_7082 Depth=1
	s_and_not1_saveexec_b32 s69, s69
; %bb.8546:                             ;   in Loop: Header=BB0_7082 Depth=1
	s_delay_alu instid0(VALU_DEP_1)
	v_or_b32_e32 v8, 0x7800, v8
; %bb.8547:                             ;   in Loop: Header=BB0_7082 Depth=1
	s_or_b32 exec_lo, exec_lo, s69
.LBB0_8548:                             ;   in Loop: Header=BB0_7082 Depth=1
	s_and_not1_saveexec_b32 s68, s68
; %bb.8549:                             ;   in Loop: Header=BB0_7082 Depth=1
	s_delay_alu instid0(VALU_DEP_1)
	v_or_b32_e32 v8, 0x7c00, v8
; %bb.8550:                             ;   in Loop: Header=BB0_7082 Depth=1
	s_or_b32 exec_lo, exec_lo, s68
	v_mov_b32_e32 v0, s62
	s_mov_b32 s68, exec_lo
	ds_load_2addr_b64 v[12:15], v0 offset0:42 offset1:43
	ds_load_b64 v[16:17], v0 offset:352
	s_wait_dscnt 0x1
	v_mul_f64_e32 v[0:1], v[4:5], v[14:15]
	s_delay_alu instid0(VALU_DEP_1) | instskip(SKIP_1) | instid1(VALU_DEP_1)
	v_fmac_f64_e32 v[0:1], v[2:3], v[12:13]
	s_wait_dscnt 0x0
	v_fmac_f64_e32 v[0:1], v[6:7], v[16:17]
	s_delay_alu instid0(VALU_DEP_1)
	v_cmpx_ngt_f64_e32 s[60:61], v[0:1]
	s_xor_b32 s68, exec_lo, s68
	s_cbranch_execz .LBB0_8670
; %bb.8551:                             ;   in Loop: Header=BB0_7082 Depth=1
	s_mov_b32 s69, exec_lo
	v_cmpx_ngt_f64_e32 s[66:67], v[0:1]
	s_xor_b32 s69, exec_lo, s69
	s_cbranch_execz .LBB0_8667
; %bb.8552:                             ;   in Loop: Header=BB0_7082 Depth=1
	s_mov_b32 s70, exec_lo
	;; [unrolled: 5-line block ×30, first 2 shown]
	v_cmpx_gt_f64_e32 s[36:37], v[0:1]
; %bb.8581:                             ;   in Loop: Header=BB0_7082 Depth=1
	v_add_nc_u32_e32 v8, 0x40000, v8
; %bb.8582:                             ;   in Loop: Header=BB0_7082 Depth=1
	s_or_b32 exec_lo, exec_lo, s98
.LBB0_8583:                             ;   in Loop: Header=BB0_7082 Depth=1
	s_and_not1_saveexec_b32 s97, s97
; %bb.8584:                             ;   in Loop: Header=BB0_7082 Depth=1
	s_delay_alu instid0(VALU_DEP_1)
	v_add_nc_u32_e32 v8, 0x80000, v8
; %bb.8585:                             ;   in Loop: Header=BB0_7082 Depth=1
	s_or_b32 exec_lo, exec_lo, s97
.LBB0_8586:                             ;   in Loop: Header=BB0_7082 Depth=1
	s_and_not1_saveexec_b32 s96, s96
; %bb.8587:                             ;   in Loop: Header=BB0_7082 Depth=1
	s_delay_alu instid0(VALU_DEP_1)
	v_add_nc_u32_e32 v8, 0xc0000, v8
; %bb.8588:                             ;   in Loop: Header=BB0_7082 Depth=1
	s_or_b32 exec_lo, exec_lo, s96
.LBB0_8589:                             ;   in Loop: Header=BB0_7082 Depth=1
	s_and_not1_saveexec_b32 s95, s95
; %bb.8590:                             ;   in Loop: Header=BB0_7082 Depth=1
	s_delay_alu instid0(VALU_DEP_1)
	v_add_nc_u32_e32 v8, 0x100000, v8
; %bb.8591:                             ;   in Loop: Header=BB0_7082 Depth=1
	s_or_b32 exec_lo, exec_lo, s95
.LBB0_8592:                             ;   in Loop: Header=BB0_7082 Depth=1
	s_and_not1_saveexec_b32 s94, s94
; %bb.8593:                             ;   in Loop: Header=BB0_7082 Depth=1
	s_delay_alu instid0(VALU_DEP_1)
	v_add_nc_u32_e32 v8, 0x140000, v8
; %bb.8594:                             ;   in Loop: Header=BB0_7082 Depth=1
	s_or_b32 exec_lo, exec_lo, s94
.LBB0_8595:                             ;   in Loop: Header=BB0_7082 Depth=1
	s_and_not1_saveexec_b32 s93, s93
; %bb.8596:                             ;   in Loop: Header=BB0_7082 Depth=1
	s_delay_alu instid0(VALU_DEP_1)
	v_add_nc_u32_e32 v8, 0x180000, v8
; %bb.8597:                             ;   in Loop: Header=BB0_7082 Depth=1
	s_or_b32 exec_lo, exec_lo, s93
.LBB0_8598:                             ;   in Loop: Header=BB0_7082 Depth=1
	s_and_not1_saveexec_b32 s92, s92
; %bb.8599:                             ;   in Loop: Header=BB0_7082 Depth=1
	s_delay_alu instid0(VALU_DEP_1)
	v_add_nc_u32_e32 v8, 0x1c0000, v8
; %bb.8600:                             ;   in Loop: Header=BB0_7082 Depth=1
	s_or_b32 exec_lo, exec_lo, s92
.LBB0_8601:                             ;   in Loop: Header=BB0_7082 Depth=1
	s_and_not1_saveexec_b32 s91, s91
; %bb.8602:                             ;   in Loop: Header=BB0_7082 Depth=1
	s_delay_alu instid0(VALU_DEP_1)
	v_add_nc_u32_e32 v8, 0x200000, v8
; %bb.8603:                             ;   in Loop: Header=BB0_7082 Depth=1
	s_or_b32 exec_lo, exec_lo, s91
.LBB0_8604:                             ;   in Loop: Header=BB0_7082 Depth=1
	s_and_not1_saveexec_b32 s90, s90
; %bb.8605:                             ;   in Loop: Header=BB0_7082 Depth=1
	s_delay_alu instid0(VALU_DEP_1)
	v_add_nc_u32_e32 v8, 0x240000, v8
; %bb.8606:                             ;   in Loop: Header=BB0_7082 Depth=1
	s_or_b32 exec_lo, exec_lo, s90
.LBB0_8607:                             ;   in Loop: Header=BB0_7082 Depth=1
	s_and_not1_saveexec_b32 s89, s89
; %bb.8608:                             ;   in Loop: Header=BB0_7082 Depth=1
	s_delay_alu instid0(VALU_DEP_1)
	v_add_nc_u32_e32 v8, 0x280000, v8
; %bb.8609:                             ;   in Loop: Header=BB0_7082 Depth=1
	s_or_b32 exec_lo, exec_lo, s89
.LBB0_8610:                             ;   in Loop: Header=BB0_7082 Depth=1
	s_and_not1_saveexec_b32 s88, s88
; %bb.8611:                             ;   in Loop: Header=BB0_7082 Depth=1
	s_delay_alu instid0(VALU_DEP_1)
	v_add_nc_u32_e32 v8, 0x2c0000, v8
; %bb.8612:                             ;   in Loop: Header=BB0_7082 Depth=1
	s_or_b32 exec_lo, exec_lo, s88
.LBB0_8613:                             ;   in Loop: Header=BB0_7082 Depth=1
	s_and_not1_saveexec_b32 s87, s87
; %bb.8614:                             ;   in Loop: Header=BB0_7082 Depth=1
	s_delay_alu instid0(VALU_DEP_1)
	v_add_nc_u32_e32 v8, 0x300000, v8
; %bb.8615:                             ;   in Loop: Header=BB0_7082 Depth=1
	s_or_b32 exec_lo, exec_lo, s87
.LBB0_8616:                             ;   in Loop: Header=BB0_7082 Depth=1
	s_and_not1_saveexec_b32 s86, s86
; %bb.8617:                             ;   in Loop: Header=BB0_7082 Depth=1
	s_delay_alu instid0(VALU_DEP_1)
	v_add_nc_u32_e32 v8, 0x340000, v8
; %bb.8618:                             ;   in Loop: Header=BB0_7082 Depth=1
	s_or_b32 exec_lo, exec_lo, s86
.LBB0_8619:                             ;   in Loop: Header=BB0_7082 Depth=1
	s_and_not1_saveexec_b32 s85, s85
; %bb.8620:                             ;   in Loop: Header=BB0_7082 Depth=1
	s_delay_alu instid0(VALU_DEP_1)
	v_add_nc_u32_e32 v8, 0x380000, v8
; %bb.8621:                             ;   in Loop: Header=BB0_7082 Depth=1
	s_or_b32 exec_lo, exec_lo, s85
.LBB0_8622:                             ;   in Loop: Header=BB0_7082 Depth=1
	s_and_not1_saveexec_b32 s84, s84
; %bb.8623:                             ;   in Loop: Header=BB0_7082 Depth=1
	s_delay_alu instid0(VALU_DEP_1)
	v_add_nc_u32_e32 v8, 0x3c0000, v8
; %bb.8624:                             ;   in Loop: Header=BB0_7082 Depth=1
	s_or_b32 exec_lo, exec_lo, s84
.LBB0_8625:                             ;   in Loop: Header=BB0_7082 Depth=1
	s_and_not1_saveexec_b32 s83, s83
; %bb.8626:                             ;   in Loop: Header=BB0_7082 Depth=1
	s_delay_alu instid0(VALU_DEP_1)
	v_add_nc_u32_e32 v8, 0x400000, v8
; %bb.8627:                             ;   in Loop: Header=BB0_7082 Depth=1
	s_or_b32 exec_lo, exec_lo, s83
.LBB0_8628:                             ;   in Loop: Header=BB0_7082 Depth=1
	s_and_not1_saveexec_b32 s82, s82
; %bb.8629:                             ;   in Loop: Header=BB0_7082 Depth=1
	s_delay_alu instid0(VALU_DEP_1)
	v_add_nc_u32_e32 v8, 0x440000, v8
; %bb.8630:                             ;   in Loop: Header=BB0_7082 Depth=1
	s_or_b32 exec_lo, exec_lo, s82
.LBB0_8631:                             ;   in Loop: Header=BB0_7082 Depth=1
	s_and_not1_saveexec_b32 s81, s81
; %bb.8632:                             ;   in Loop: Header=BB0_7082 Depth=1
	s_delay_alu instid0(VALU_DEP_1)
	v_add_nc_u32_e32 v8, 0x480000, v8
; %bb.8633:                             ;   in Loop: Header=BB0_7082 Depth=1
	s_or_b32 exec_lo, exec_lo, s81
.LBB0_8634:                             ;   in Loop: Header=BB0_7082 Depth=1
	s_and_not1_saveexec_b32 s80, s80
; %bb.8635:                             ;   in Loop: Header=BB0_7082 Depth=1
	s_delay_alu instid0(VALU_DEP_1)
	v_add_nc_u32_e32 v8, 0x4c0000, v8
; %bb.8636:                             ;   in Loop: Header=BB0_7082 Depth=1
	s_or_b32 exec_lo, exec_lo, s80
.LBB0_8637:                             ;   in Loop: Header=BB0_7082 Depth=1
	s_and_not1_saveexec_b32 s79, s79
; %bb.8638:                             ;   in Loop: Header=BB0_7082 Depth=1
	s_delay_alu instid0(VALU_DEP_1)
	v_add_nc_u32_e32 v8, 0x500000, v8
; %bb.8639:                             ;   in Loop: Header=BB0_7082 Depth=1
	s_or_b32 exec_lo, exec_lo, s79
.LBB0_8640:                             ;   in Loop: Header=BB0_7082 Depth=1
	s_and_not1_saveexec_b32 s78, s78
; %bb.8641:                             ;   in Loop: Header=BB0_7082 Depth=1
	s_delay_alu instid0(VALU_DEP_1)
	v_add_nc_u32_e32 v8, 0x540000, v8
; %bb.8642:                             ;   in Loop: Header=BB0_7082 Depth=1
	s_or_b32 exec_lo, exec_lo, s78
.LBB0_8643:                             ;   in Loop: Header=BB0_7082 Depth=1
	s_and_not1_saveexec_b32 s77, s77
; %bb.8644:                             ;   in Loop: Header=BB0_7082 Depth=1
	s_delay_alu instid0(VALU_DEP_1)
	v_add_nc_u32_e32 v8, 0x580000, v8
; %bb.8645:                             ;   in Loop: Header=BB0_7082 Depth=1
	s_or_b32 exec_lo, exec_lo, s77
.LBB0_8646:                             ;   in Loop: Header=BB0_7082 Depth=1
	s_and_not1_saveexec_b32 s76, s76
; %bb.8647:                             ;   in Loop: Header=BB0_7082 Depth=1
	s_delay_alu instid0(VALU_DEP_1)
	v_add_nc_u32_e32 v8, 0x5c0000, v8
; %bb.8648:                             ;   in Loop: Header=BB0_7082 Depth=1
	s_or_b32 exec_lo, exec_lo, s76
.LBB0_8649:                             ;   in Loop: Header=BB0_7082 Depth=1
	s_and_not1_saveexec_b32 s75, s75
; %bb.8650:                             ;   in Loop: Header=BB0_7082 Depth=1
	s_delay_alu instid0(VALU_DEP_1)
	v_add_nc_u32_e32 v8, 0x600000, v8
; %bb.8651:                             ;   in Loop: Header=BB0_7082 Depth=1
	s_or_b32 exec_lo, exec_lo, s75
.LBB0_8652:                             ;   in Loop: Header=BB0_7082 Depth=1
	s_and_not1_saveexec_b32 s74, s74
; %bb.8653:                             ;   in Loop: Header=BB0_7082 Depth=1
	s_delay_alu instid0(VALU_DEP_1)
	v_add_nc_u32_e32 v8, 0x640000, v8
; %bb.8654:                             ;   in Loop: Header=BB0_7082 Depth=1
	s_or_b32 exec_lo, exec_lo, s74
.LBB0_8655:                             ;   in Loop: Header=BB0_7082 Depth=1
	s_and_not1_saveexec_b32 s73, s73
; %bb.8656:                             ;   in Loop: Header=BB0_7082 Depth=1
	s_delay_alu instid0(VALU_DEP_1)
	v_add_nc_u32_e32 v8, 0x680000, v8
; %bb.8657:                             ;   in Loop: Header=BB0_7082 Depth=1
	s_or_b32 exec_lo, exec_lo, s73
.LBB0_8658:                             ;   in Loop: Header=BB0_7082 Depth=1
	s_and_not1_saveexec_b32 s72, s72
; %bb.8659:                             ;   in Loop: Header=BB0_7082 Depth=1
	s_delay_alu instid0(VALU_DEP_1)
	v_add_nc_u32_e32 v8, 0x6c0000, v8
; %bb.8660:                             ;   in Loop: Header=BB0_7082 Depth=1
	s_or_b32 exec_lo, exec_lo, s72
.LBB0_8661:                             ;   in Loop: Header=BB0_7082 Depth=1
	s_and_not1_saveexec_b32 s71, s71
; %bb.8662:                             ;   in Loop: Header=BB0_7082 Depth=1
	s_delay_alu instid0(VALU_DEP_1)
	v_add_nc_u32_e32 v8, 0x700000, v8
; %bb.8663:                             ;   in Loop: Header=BB0_7082 Depth=1
	s_or_b32 exec_lo, exec_lo, s71
.LBB0_8664:                             ;   in Loop: Header=BB0_7082 Depth=1
	s_and_not1_saveexec_b32 s70, s70
; %bb.8665:                             ;   in Loop: Header=BB0_7082 Depth=1
	s_delay_alu instid0(VALU_DEP_1)
	v_add_nc_u32_e32 v8, 0x740000, v8
; %bb.8666:                             ;   in Loop: Header=BB0_7082 Depth=1
	s_or_b32 exec_lo, exec_lo, s70
.LBB0_8667:                             ;   in Loop: Header=BB0_7082 Depth=1
	s_and_not1_saveexec_b32 s69, s69
; %bb.8668:                             ;   in Loop: Header=BB0_7082 Depth=1
	s_delay_alu instid0(VALU_DEP_1)
	v_add_nc_u32_e32 v8, 0x780000, v8
; %bb.8669:                             ;   in Loop: Header=BB0_7082 Depth=1
	s_or_b32 exec_lo, exec_lo, s69
.LBB0_8670:                             ;   in Loop: Header=BB0_7082 Depth=1
	s_and_not1_saveexec_b32 s68, s68
; %bb.8671:                             ;   in Loop: Header=BB0_7082 Depth=1
	s_delay_alu instid0(VALU_DEP_1)
	v_add_nc_u32_e32 v8, 0x7c0000, v8
; %bb.8672:                             ;   in Loop: Header=BB0_7082 Depth=1
	s_or_b32 exec_lo, exec_lo, s68
	v_mov_b32_e32 v0, s62
	s_mov_b32 s68, exec_lo
	ds_load_2addr_b64 v[12:15], v0 offset0:45 offset1:46
	ds_load_b64 v[16:17], v0 offset:376
	s_wait_dscnt 0x1
	v_mul_f64_e32 v[0:1], v[4:5], v[14:15]
	s_delay_alu instid0(VALU_DEP_1) | instskip(SKIP_1) | instid1(VALU_DEP_1)
	v_fmac_f64_e32 v[0:1], v[2:3], v[12:13]
	s_wait_dscnt 0x0
	v_fmac_f64_e32 v[0:1], v[6:7], v[16:17]
	s_delay_alu instid0(VALU_DEP_1)
	v_cmpx_ngt_f64_e32 s[60:61], v[0:1]
	s_xor_b32 s68, exec_lo, s68
	s_cbranch_execz .LBB0_8792
; %bb.8673:                             ;   in Loop: Header=BB0_7082 Depth=1
	s_mov_b32 s69, exec_lo
	v_cmpx_ngt_f64_e32 s[66:67], v[0:1]
	s_xor_b32 s69, exec_lo, s69
	s_cbranch_execz .LBB0_8789
; %bb.8674:                             ;   in Loop: Header=BB0_7082 Depth=1
	s_mov_b32 s70, exec_lo
	;; [unrolled: 5-line block ×30, first 2 shown]
	v_cmpx_gt_f64_e32 s[36:37], v[0:1]
; %bb.8703:                             ;   in Loop: Header=BB0_7082 Depth=1
	v_add_nc_u32_e32 v8, 0x4000000, v8
; %bb.8704:                             ;   in Loop: Header=BB0_7082 Depth=1
	s_or_b32 exec_lo, exec_lo, s98
.LBB0_8705:                             ;   in Loop: Header=BB0_7082 Depth=1
	s_and_not1_saveexec_b32 s97, s97
; %bb.8706:                             ;   in Loop: Header=BB0_7082 Depth=1
	s_delay_alu instid0(VALU_DEP_1)
	v_add_nc_u32_e32 v8, 0x8000000, v8
; %bb.8707:                             ;   in Loop: Header=BB0_7082 Depth=1
	s_or_b32 exec_lo, exec_lo, s97
.LBB0_8708:                             ;   in Loop: Header=BB0_7082 Depth=1
	s_and_not1_saveexec_b32 s96, s96
; %bb.8709:                             ;   in Loop: Header=BB0_7082 Depth=1
	s_delay_alu instid0(VALU_DEP_1)
	v_add_nc_u32_e32 v8, 0xc000000, v8
; %bb.8710:                             ;   in Loop: Header=BB0_7082 Depth=1
	s_or_b32 exec_lo, exec_lo, s96
.LBB0_8711:                             ;   in Loop: Header=BB0_7082 Depth=1
	s_and_not1_saveexec_b32 s95, s95
; %bb.8712:                             ;   in Loop: Header=BB0_7082 Depth=1
	s_delay_alu instid0(VALU_DEP_1)
	v_add_nc_u32_e32 v8, 0x10000000, v8
; %bb.8713:                             ;   in Loop: Header=BB0_7082 Depth=1
	s_or_b32 exec_lo, exec_lo, s95
.LBB0_8714:                             ;   in Loop: Header=BB0_7082 Depth=1
	s_and_not1_saveexec_b32 s94, s94
; %bb.8715:                             ;   in Loop: Header=BB0_7082 Depth=1
	s_delay_alu instid0(VALU_DEP_1)
	v_add_nc_u32_e32 v8, 0x14000000, v8
; %bb.8716:                             ;   in Loop: Header=BB0_7082 Depth=1
	s_or_b32 exec_lo, exec_lo, s94
.LBB0_8717:                             ;   in Loop: Header=BB0_7082 Depth=1
	s_and_not1_saveexec_b32 s93, s93
; %bb.8718:                             ;   in Loop: Header=BB0_7082 Depth=1
	s_delay_alu instid0(VALU_DEP_1)
	v_add_nc_u32_e32 v8, 0x18000000, v8
; %bb.8719:                             ;   in Loop: Header=BB0_7082 Depth=1
	s_or_b32 exec_lo, exec_lo, s93
.LBB0_8720:                             ;   in Loop: Header=BB0_7082 Depth=1
	s_and_not1_saveexec_b32 s92, s92
; %bb.8721:                             ;   in Loop: Header=BB0_7082 Depth=1
	s_delay_alu instid0(VALU_DEP_1)
	v_add_nc_u32_e32 v8, 0x1c000000, v8
; %bb.8722:                             ;   in Loop: Header=BB0_7082 Depth=1
	s_or_b32 exec_lo, exec_lo, s92
.LBB0_8723:                             ;   in Loop: Header=BB0_7082 Depth=1
	s_and_not1_saveexec_b32 s91, s91
; %bb.8724:                             ;   in Loop: Header=BB0_7082 Depth=1
	s_delay_alu instid0(VALU_DEP_1)
	v_add_nc_u32_e32 v8, 0x20000000, v8
; %bb.8725:                             ;   in Loop: Header=BB0_7082 Depth=1
	s_or_b32 exec_lo, exec_lo, s91
.LBB0_8726:                             ;   in Loop: Header=BB0_7082 Depth=1
	s_and_not1_saveexec_b32 s90, s90
; %bb.8727:                             ;   in Loop: Header=BB0_7082 Depth=1
	s_delay_alu instid0(VALU_DEP_1)
	v_add_nc_u32_e32 v8, 0x24000000, v8
; %bb.8728:                             ;   in Loop: Header=BB0_7082 Depth=1
	s_or_b32 exec_lo, exec_lo, s90
.LBB0_8729:                             ;   in Loop: Header=BB0_7082 Depth=1
	s_and_not1_saveexec_b32 s89, s89
; %bb.8730:                             ;   in Loop: Header=BB0_7082 Depth=1
	s_delay_alu instid0(VALU_DEP_1)
	v_add_nc_u32_e32 v8, 0x28000000, v8
; %bb.8731:                             ;   in Loop: Header=BB0_7082 Depth=1
	s_or_b32 exec_lo, exec_lo, s89
.LBB0_8732:                             ;   in Loop: Header=BB0_7082 Depth=1
	s_and_not1_saveexec_b32 s88, s88
; %bb.8733:                             ;   in Loop: Header=BB0_7082 Depth=1
	s_delay_alu instid0(VALU_DEP_1)
	v_add_nc_u32_e32 v8, 0x2c000000, v8
; %bb.8734:                             ;   in Loop: Header=BB0_7082 Depth=1
	s_or_b32 exec_lo, exec_lo, s88
.LBB0_8735:                             ;   in Loop: Header=BB0_7082 Depth=1
	s_and_not1_saveexec_b32 s87, s87
; %bb.8736:                             ;   in Loop: Header=BB0_7082 Depth=1
	s_delay_alu instid0(VALU_DEP_1)
	v_add_nc_u32_e32 v8, 0x30000000, v8
; %bb.8737:                             ;   in Loop: Header=BB0_7082 Depth=1
	s_or_b32 exec_lo, exec_lo, s87
.LBB0_8738:                             ;   in Loop: Header=BB0_7082 Depth=1
	s_and_not1_saveexec_b32 s86, s86
; %bb.8739:                             ;   in Loop: Header=BB0_7082 Depth=1
	s_delay_alu instid0(VALU_DEP_1)
	v_add_nc_u32_e32 v8, 0x34000000, v8
; %bb.8740:                             ;   in Loop: Header=BB0_7082 Depth=1
	s_or_b32 exec_lo, exec_lo, s86
.LBB0_8741:                             ;   in Loop: Header=BB0_7082 Depth=1
	s_and_not1_saveexec_b32 s85, s85
; %bb.8742:                             ;   in Loop: Header=BB0_7082 Depth=1
	s_delay_alu instid0(VALU_DEP_1)
	v_add_nc_u32_e32 v8, 0x38000000, v8
; %bb.8743:                             ;   in Loop: Header=BB0_7082 Depth=1
	s_or_b32 exec_lo, exec_lo, s85
.LBB0_8744:                             ;   in Loop: Header=BB0_7082 Depth=1
	s_and_not1_saveexec_b32 s84, s84
; %bb.8745:                             ;   in Loop: Header=BB0_7082 Depth=1
	s_delay_alu instid0(VALU_DEP_1)
	v_add_nc_u32_e32 v8, 0x3c000000, v8
; %bb.8746:                             ;   in Loop: Header=BB0_7082 Depth=1
	s_or_b32 exec_lo, exec_lo, s84
.LBB0_8747:                             ;   in Loop: Header=BB0_7082 Depth=1
	s_and_not1_saveexec_b32 s83, s83
; %bb.8748:                             ;   in Loop: Header=BB0_7082 Depth=1
	s_delay_alu instid0(VALU_DEP_1)
	v_add_nc_u32_e32 v8, 2.0, v8
; %bb.8749:                             ;   in Loop: Header=BB0_7082 Depth=1
	s_or_b32 exec_lo, exec_lo, s83
.LBB0_8750:                             ;   in Loop: Header=BB0_7082 Depth=1
	s_and_not1_saveexec_b32 s82, s82
; %bb.8751:                             ;   in Loop: Header=BB0_7082 Depth=1
	s_delay_alu instid0(VALU_DEP_1)
	v_add_nc_u32_e32 v8, 0x44000000, v8
; %bb.8752:                             ;   in Loop: Header=BB0_7082 Depth=1
	s_or_b32 exec_lo, exec_lo, s82
.LBB0_8753:                             ;   in Loop: Header=BB0_7082 Depth=1
	s_and_not1_saveexec_b32 s81, s81
; %bb.8754:                             ;   in Loop: Header=BB0_7082 Depth=1
	s_delay_alu instid0(VALU_DEP_1)
	v_add_nc_u32_e32 v8, 0x48000000, v8
; %bb.8755:                             ;   in Loop: Header=BB0_7082 Depth=1
	s_or_b32 exec_lo, exec_lo, s81
.LBB0_8756:                             ;   in Loop: Header=BB0_7082 Depth=1
	s_and_not1_saveexec_b32 s80, s80
; %bb.8757:                             ;   in Loop: Header=BB0_7082 Depth=1
	s_delay_alu instid0(VALU_DEP_1)
	v_add_nc_u32_e32 v8, 0x4c000000, v8
; %bb.8758:                             ;   in Loop: Header=BB0_7082 Depth=1
	s_or_b32 exec_lo, exec_lo, s80
.LBB0_8759:                             ;   in Loop: Header=BB0_7082 Depth=1
	s_and_not1_saveexec_b32 s79, s79
; %bb.8760:                             ;   in Loop: Header=BB0_7082 Depth=1
	s_delay_alu instid0(VALU_DEP_1)
	v_add_nc_u32_e32 v8, 0x50000000, v8
; %bb.8761:                             ;   in Loop: Header=BB0_7082 Depth=1
	s_or_b32 exec_lo, exec_lo, s79
.LBB0_8762:                             ;   in Loop: Header=BB0_7082 Depth=1
	s_and_not1_saveexec_b32 s78, s78
; %bb.8763:                             ;   in Loop: Header=BB0_7082 Depth=1
	s_delay_alu instid0(VALU_DEP_1)
	v_add_nc_u32_e32 v8, 0x54000000, v8
; %bb.8764:                             ;   in Loop: Header=BB0_7082 Depth=1
	s_or_b32 exec_lo, exec_lo, s78
.LBB0_8765:                             ;   in Loop: Header=BB0_7082 Depth=1
	s_and_not1_saveexec_b32 s77, s77
; %bb.8766:                             ;   in Loop: Header=BB0_7082 Depth=1
	s_delay_alu instid0(VALU_DEP_1)
	v_add_nc_u32_e32 v8, 0x58000000, v8
; %bb.8767:                             ;   in Loop: Header=BB0_7082 Depth=1
	s_or_b32 exec_lo, exec_lo, s77
.LBB0_8768:                             ;   in Loop: Header=BB0_7082 Depth=1
	s_and_not1_saveexec_b32 s76, s76
; %bb.8769:                             ;   in Loop: Header=BB0_7082 Depth=1
	s_delay_alu instid0(VALU_DEP_1)
	v_add_nc_u32_e32 v8, 0x5c000000, v8
; %bb.8770:                             ;   in Loop: Header=BB0_7082 Depth=1
	s_or_b32 exec_lo, exec_lo, s76
.LBB0_8771:                             ;   in Loop: Header=BB0_7082 Depth=1
	s_and_not1_saveexec_b32 s75, s75
; %bb.8772:                             ;   in Loop: Header=BB0_7082 Depth=1
	s_delay_alu instid0(VALU_DEP_1)
	v_add_nc_u32_e32 v8, 0x60000000, v8
; %bb.8773:                             ;   in Loop: Header=BB0_7082 Depth=1
	s_or_b32 exec_lo, exec_lo, s75
.LBB0_8774:                             ;   in Loop: Header=BB0_7082 Depth=1
	s_and_not1_saveexec_b32 s74, s74
; %bb.8775:                             ;   in Loop: Header=BB0_7082 Depth=1
	s_delay_alu instid0(VALU_DEP_1)
	v_add_nc_u32_e32 v8, 0x64000000, v8
; %bb.8776:                             ;   in Loop: Header=BB0_7082 Depth=1
	s_or_b32 exec_lo, exec_lo, s74
.LBB0_8777:                             ;   in Loop: Header=BB0_7082 Depth=1
	s_and_not1_saveexec_b32 s73, s73
; %bb.8778:                             ;   in Loop: Header=BB0_7082 Depth=1
	s_delay_alu instid0(VALU_DEP_1)
	v_add_nc_u32_e32 v8, 0x68000000, v8
; %bb.8779:                             ;   in Loop: Header=BB0_7082 Depth=1
	s_or_b32 exec_lo, exec_lo, s73
.LBB0_8780:                             ;   in Loop: Header=BB0_7082 Depth=1
	s_and_not1_saveexec_b32 s72, s72
; %bb.8781:                             ;   in Loop: Header=BB0_7082 Depth=1
	s_delay_alu instid0(VALU_DEP_1)
	v_add_nc_u32_e32 v8, 0x6c000000, v8
; %bb.8782:                             ;   in Loop: Header=BB0_7082 Depth=1
	s_or_b32 exec_lo, exec_lo, s72
.LBB0_8783:                             ;   in Loop: Header=BB0_7082 Depth=1
	s_and_not1_saveexec_b32 s71, s71
; %bb.8784:                             ;   in Loop: Header=BB0_7082 Depth=1
	s_delay_alu instid0(VALU_DEP_1)
	v_add_nc_u32_e32 v8, 0x70000000, v8
; %bb.8785:                             ;   in Loop: Header=BB0_7082 Depth=1
	s_or_b32 exec_lo, exec_lo, s71
.LBB0_8786:                             ;   in Loop: Header=BB0_7082 Depth=1
	s_and_not1_saveexec_b32 s70, s70
; %bb.8787:                             ;   in Loop: Header=BB0_7082 Depth=1
	s_delay_alu instid0(VALU_DEP_1)
	v_add_nc_u32_e32 v8, 0x74000000, v8
; %bb.8788:                             ;   in Loop: Header=BB0_7082 Depth=1
	s_or_b32 exec_lo, exec_lo, s70
.LBB0_8789:                             ;   in Loop: Header=BB0_7082 Depth=1
	s_and_not1_saveexec_b32 s69, s69
; %bb.8790:                             ;   in Loop: Header=BB0_7082 Depth=1
	s_delay_alu instid0(VALU_DEP_1)
	v_add_nc_u32_e32 v8, 0x78000000, v8
; %bb.8791:                             ;   in Loop: Header=BB0_7082 Depth=1
	s_or_b32 exec_lo, exec_lo, s69
.LBB0_8792:                             ;   in Loop: Header=BB0_7082 Depth=1
	s_and_not1_saveexec_b32 s68, s68
; %bb.8793:                             ;   in Loop: Header=BB0_7082 Depth=1
	s_delay_alu instid0(VALU_DEP_1)
	v_add_nc_u32_e32 v8, 0x7c000000, v8
; %bb.8794:                             ;   in Loop: Header=BB0_7082 Depth=1
	s_or_b32 exec_lo, exec_lo, s68
	v_dual_mov_b32 v0, s62 :: v_dual_mov_b32 v9, 0x7c
	v_add3_u32 v11, v10, s63, 0xc000
	s_mov_b32 s68, exec_lo
	ds_load_2addr_b64 v[12:15], v0 offset0:48 offset1:49
	ds_load_b64 v[16:17], v0 offset:400
	global_store_b32 v11, v8, s[34:35] scale_offset
	s_wait_dscnt 0x1
	v_mul_f64_e32 v[0:1], v[4:5], v[14:15]
	s_delay_alu instid0(VALU_DEP_1) | instskip(SKIP_1) | instid1(VALU_DEP_1)
	v_fmac_f64_e32 v[0:1], v[2:3], v[12:13]
	s_wait_dscnt 0x0
	v_fmac_f64_e32 v[0:1], v[6:7], v[16:17]
	s_wait_xcnt 0x0
	s_delay_alu instid0(VALU_DEP_1)
	v_cmpx_ngt_f64_e32 s[60:61], v[0:1]
	s_cbranch_execz .LBB0_8856
; %bb.8795:                             ;   in Loop: Header=BB0_7082 Depth=1
	v_mov_b32_e32 v9, 0x78
	s_mov_b32 s69, exec_lo
	v_cmpx_ngt_f64_e32 s[66:67], v[0:1]
	s_cbranch_execz .LBB0_8855
; %bb.8796:                             ;   in Loop: Header=BB0_7082 Depth=1
	v_mov_b32_e32 v9, 0x74
	s_mov_b32 s70, exec_lo
	;; [unrolled: 5-line block ×30, first 2 shown]
	v_cmpx_gt_f64_e32 s[36:37], v[0:1]
; %bb.8825:                             ;   in Loop: Header=BB0_7082 Depth=1
	v_mov_b32_e32 v9, 4
; %bb.8826:                             ;   in Loop: Header=BB0_7082 Depth=1
	s_or_b32 exec_lo, exec_lo, s98
.LBB0_8827:                             ;   in Loop: Header=BB0_7082 Depth=1
	s_delay_alu instid0(SALU_CYCLE_1)
	s_or_b32 exec_lo, exec_lo, s97
.LBB0_8828:                             ;   in Loop: Header=BB0_7082 Depth=1
	s_delay_alu instid0(SALU_CYCLE_1)
	s_or_b32 exec_lo, exec_lo, s96
.LBB0_8829:                             ;   in Loop: Header=BB0_7082 Depth=1
	s_delay_alu instid0(SALU_CYCLE_1)
	s_or_b32 exec_lo, exec_lo, s95
.LBB0_8830:                             ;   in Loop: Header=BB0_7082 Depth=1
	s_delay_alu instid0(SALU_CYCLE_1)
	s_or_b32 exec_lo, exec_lo, s94
.LBB0_8831:                             ;   in Loop: Header=BB0_7082 Depth=1
	s_delay_alu instid0(SALU_CYCLE_1)
	s_or_b32 exec_lo, exec_lo, s93
.LBB0_8832:                             ;   in Loop: Header=BB0_7082 Depth=1
	s_delay_alu instid0(SALU_CYCLE_1)
	s_or_b32 exec_lo, exec_lo, s92
.LBB0_8833:                             ;   in Loop: Header=BB0_7082 Depth=1
	s_delay_alu instid0(SALU_CYCLE_1)
	s_or_b32 exec_lo, exec_lo, s91
.LBB0_8834:                             ;   in Loop: Header=BB0_7082 Depth=1
	s_delay_alu instid0(SALU_CYCLE_1)
	s_or_b32 exec_lo, exec_lo, s90
.LBB0_8835:                             ;   in Loop: Header=BB0_7082 Depth=1
	s_delay_alu instid0(SALU_CYCLE_1)
	s_or_b32 exec_lo, exec_lo, s89
.LBB0_8836:                             ;   in Loop: Header=BB0_7082 Depth=1
	s_delay_alu instid0(SALU_CYCLE_1)
	s_or_b32 exec_lo, exec_lo, s88
.LBB0_8837:                             ;   in Loop: Header=BB0_7082 Depth=1
	s_delay_alu instid0(SALU_CYCLE_1)
	s_or_b32 exec_lo, exec_lo, s87
.LBB0_8838:                             ;   in Loop: Header=BB0_7082 Depth=1
	s_delay_alu instid0(SALU_CYCLE_1)
	s_or_b32 exec_lo, exec_lo, s86
.LBB0_8839:                             ;   in Loop: Header=BB0_7082 Depth=1
	s_delay_alu instid0(SALU_CYCLE_1)
	s_or_b32 exec_lo, exec_lo, s85
.LBB0_8840:                             ;   in Loop: Header=BB0_7082 Depth=1
	s_delay_alu instid0(SALU_CYCLE_1)
	s_or_b32 exec_lo, exec_lo, s84
.LBB0_8841:                             ;   in Loop: Header=BB0_7082 Depth=1
	s_delay_alu instid0(SALU_CYCLE_1)
	s_or_b32 exec_lo, exec_lo, s83
.LBB0_8842:                             ;   in Loop: Header=BB0_7082 Depth=1
	s_delay_alu instid0(SALU_CYCLE_1)
	s_or_b32 exec_lo, exec_lo, s82
.LBB0_8843:                             ;   in Loop: Header=BB0_7082 Depth=1
	s_delay_alu instid0(SALU_CYCLE_1)
	s_or_b32 exec_lo, exec_lo, s81
.LBB0_8844:                             ;   in Loop: Header=BB0_7082 Depth=1
	s_delay_alu instid0(SALU_CYCLE_1)
	s_or_b32 exec_lo, exec_lo, s80
.LBB0_8845:                             ;   in Loop: Header=BB0_7082 Depth=1
	s_delay_alu instid0(SALU_CYCLE_1)
	s_or_b32 exec_lo, exec_lo, s79
.LBB0_8846:                             ;   in Loop: Header=BB0_7082 Depth=1
	s_delay_alu instid0(SALU_CYCLE_1)
	s_or_b32 exec_lo, exec_lo, s78
.LBB0_8847:                             ;   in Loop: Header=BB0_7082 Depth=1
	s_delay_alu instid0(SALU_CYCLE_1)
	s_or_b32 exec_lo, exec_lo, s77
.LBB0_8848:                             ;   in Loop: Header=BB0_7082 Depth=1
	s_delay_alu instid0(SALU_CYCLE_1)
	s_or_b32 exec_lo, exec_lo, s76
.LBB0_8849:                             ;   in Loop: Header=BB0_7082 Depth=1
	s_delay_alu instid0(SALU_CYCLE_1)
	s_or_b32 exec_lo, exec_lo, s75
.LBB0_8850:                             ;   in Loop: Header=BB0_7082 Depth=1
	s_delay_alu instid0(SALU_CYCLE_1)
	s_or_b32 exec_lo, exec_lo, s74
.LBB0_8851:                             ;   in Loop: Header=BB0_7082 Depth=1
	s_delay_alu instid0(SALU_CYCLE_1)
	s_or_b32 exec_lo, exec_lo, s73
.LBB0_8852:                             ;   in Loop: Header=BB0_7082 Depth=1
	s_delay_alu instid0(SALU_CYCLE_1)
	s_or_b32 exec_lo, exec_lo, s72
.LBB0_8853:                             ;   in Loop: Header=BB0_7082 Depth=1
	s_delay_alu instid0(SALU_CYCLE_1)
	s_or_b32 exec_lo, exec_lo, s71
.LBB0_8854:                             ;   in Loop: Header=BB0_7082 Depth=1
	s_delay_alu instid0(SALU_CYCLE_1)
	s_or_b32 exec_lo, exec_lo, s70
.LBB0_8855:                             ;   in Loop: Header=BB0_7082 Depth=1
	s_delay_alu instid0(SALU_CYCLE_1)
	s_or_b32 exec_lo, exec_lo, s69
.LBB0_8856:                             ;   in Loop: Header=BB0_7082 Depth=1
	s_delay_alu instid0(SALU_CYCLE_1)
	s_or_b32 exec_lo, exec_lo, s68
	v_mov_b32_e32 v0, s62
	s_mov_b32 s68, exec_lo
	ds_load_2addr_b64 v[12:15], v0 offset0:51 offset1:52
	ds_load_b64 v[16:17], v0 offset:424
	s_wait_dscnt 0x1
	v_mul_f64_e32 v[0:1], v[4:5], v[14:15]
	s_delay_alu instid0(VALU_DEP_1) | instskip(SKIP_1) | instid1(VALU_DEP_1)
	v_fmac_f64_e32 v[0:1], v[2:3], v[12:13]
	s_wait_dscnt 0x0
	v_fmac_f64_e32 v[0:1], v[6:7], v[16:17]
	s_delay_alu instid0(VALU_DEP_1)
	v_cmpx_ngt_f64_e32 s[60:61], v[0:1]
	s_xor_b32 s68, exec_lo, s68
	s_cbranch_execz .LBB0_8976
; %bb.8857:                             ;   in Loop: Header=BB0_7082 Depth=1
	s_mov_b32 s69, exec_lo
	v_cmpx_ngt_f64_e32 s[66:67], v[0:1]
	s_xor_b32 s69, exec_lo, s69
	s_cbranch_execz .LBB0_8973
; %bb.8858:                             ;   in Loop: Header=BB0_7082 Depth=1
	s_mov_b32 s70, exec_lo
	;; [unrolled: 5-line block ×30, first 2 shown]
	v_cmpx_gt_f64_e32 s[36:37], v[0:1]
; %bb.8887:                             ;   in Loop: Header=BB0_7082 Depth=1
	v_or_b32_e32 v9, 0x400, v9
; %bb.8888:                             ;   in Loop: Header=BB0_7082 Depth=1
	s_or_b32 exec_lo, exec_lo, s98
.LBB0_8889:                             ;   in Loop: Header=BB0_7082 Depth=1
	s_and_not1_saveexec_b32 s97, s97
; %bb.8890:                             ;   in Loop: Header=BB0_7082 Depth=1
	s_delay_alu instid0(VALU_DEP_1)
	v_or_b32_e32 v9, 0x800, v9
; %bb.8891:                             ;   in Loop: Header=BB0_7082 Depth=1
	s_or_b32 exec_lo, exec_lo, s97
.LBB0_8892:                             ;   in Loop: Header=BB0_7082 Depth=1
	s_and_not1_saveexec_b32 s96, s96
; %bb.8893:                             ;   in Loop: Header=BB0_7082 Depth=1
	s_delay_alu instid0(VALU_DEP_1)
	v_or_b32_e32 v9, 0xc00, v9
; %bb.8894:                             ;   in Loop: Header=BB0_7082 Depth=1
	s_or_b32 exec_lo, exec_lo, s96
.LBB0_8895:                             ;   in Loop: Header=BB0_7082 Depth=1
	s_and_not1_saveexec_b32 s95, s95
; %bb.8896:                             ;   in Loop: Header=BB0_7082 Depth=1
	s_delay_alu instid0(VALU_DEP_1)
	v_or_b32_e32 v9, 0x1000, v9
; %bb.8897:                             ;   in Loop: Header=BB0_7082 Depth=1
	s_or_b32 exec_lo, exec_lo, s95
.LBB0_8898:                             ;   in Loop: Header=BB0_7082 Depth=1
	s_and_not1_saveexec_b32 s94, s94
; %bb.8899:                             ;   in Loop: Header=BB0_7082 Depth=1
	s_delay_alu instid0(VALU_DEP_1)
	v_or_b32_e32 v9, 0x1400, v9
; %bb.8900:                             ;   in Loop: Header=BB0_7082 Depth=1
	s_or_b32 exec_lo, exec_lo, s94
.LBB0_8901:                             ;   in Loop: Header=BB0_7082 Depth=1
	s_and_not1_saveexec_b32 s93, s93
; %bb.8902:                             ;   in Loop: Header=BB0_7082 Depth=1
	s_delay_alu instid0(VALU_DEP_1)
	v_or_b32_e32 v9, 0x1800, v9
; %bb.8903:                             ;   in Loop: Header=BB0_7082 Depth=1
	s_or_b32 exec_lo, exec_lo, s93
.LBB0_8904:                             ;   in Loop: Header=BB0_7082 Depth=1
	s_and_not1_saveexec_b32 s92, s92
; %bb.8905:                             ;   in Loop: Header=BB0_7082 Depth=1
	s_delay_alu instid0(VALU_DEP_1)
	v_or_b32_e32 v9, 0x1c00, v9
; %bb.8906:                             ;   in Loop: Header=BB0_7082 Depth=1
	s_or_b32 exec_lo, exec_lo, s92
.LBB0_8907:                             ;   in Loop: Header=BB0_7082 Depth=1
	s_and_not1_saveexec_b32 s91, s91
; %bb.8908:                             ;   in Loop: Header=BB0_7082 Depth=1
	s_delay_alu instid0(VALU_DEP_1)
	v_or_b32_e32 v9, 0x2000, v9
; %bb.8909:                             ;   in Loop: Header=BB0_7082 Depth=1
	s_or_b32 exec_lo, exec_lo, s91
.LBB0_8910:                             ;   in Loop: Header=BB0_7082 Depth=1
	s_and_not1_saveexec_b32 s90, s90
; %bb.8911:                             ;   in Loop: Header=BB0_7082 Depth=1
	s_delay_alu instid0(VALU_DEP_1)
	v_or_b32_e32 v9, 0x2400, v9
; %bb.8912:                             ;   in Loop: Header=BB0_7082 Depth=1
	s_or_b32 exec_lo, exec_lo, s90
.LBB0_8913:                             ;   in Loop: Header=BB0_7082 Depth=1
	s_and_not1_saveexec_b32 s89, s89
; %bb.8914:                             ;   in Loop: Header=BB0_7082 Depth=1
	s_delay_alu instid0(VALU_DEP_1)
	v_or_b32_e32 v9, 0x2800, v9
; %bb.8915:                             ;   in Loop: Header=BB0_7082 Depth=1
	s_or_b32 exec_lo, exec_lo, s89
.LBB0_8916:                             ;   in Loop: Header=BB0_7082 Depth=1
	s_and_not1_saveexec_b32 s88, s88
; %bb.8917:                             ;   in Loop: Header=BB0_7082 Depth=1
	s_delay_alu instid0(VALU_DEP_1)
	v_or_b32_e32 v9, 0x2c00, v9
; %bb.8918:                             ;   in Loop: Header=BB0_7082 Depth=1
	s_or_b32 exec_lo, exec_lo, s88
.LBB0_8919:                             ;   in Loop: Header=BB0_7082 Depth=1
	s_and_not1_saveexec_b32 s87, s87
; %bb.8920:                             ;   in Loop: Header=BB0_7082 Depth=1
	s_delay_alu instid0(VALU_DEP_1)
	v_or_b32_e32 v9, 0x3000, v9
; %bb.8921:                             ;   in Loop: Header=BB0_7082 Depth=1
	s_or_b32 exec_lo, exec_lo, s87
.LBB0_8922:                             ;   in Loop: Header=BB0_7082 Depth=1
	s_and_not1_saveexec_b32 s86, s86
; %bb.8923:                             ;   in Loop: Header=BB0_7082 Depth=1
	s_delay_alu instid0(VALU_DEP_1)
	v_or_b32_e32 v9, 0x3400, v9
; %bb.8924:                             ;   in Loop: Header=BB0_7082 Depth=1
	s_or_b32 exec_lo, exec_lo, s86
.LBB0_8925:                             ;   in Loop: Header=BB0_7082 Depth=1
	s_and_not1_saveexec_b32 s85, s85
; %bb.8926:                             ;   in Loop: Header=BB0_7082 Depth=1
	s_delay_alu instid0(VALU_DEP_1)
	v_or_b32_e32 v9, 0x3800, v9
; %bb.8927:                             ;   in Loop: Header=BB0_7082 Depth=1
	s_or_b32 exec_lo, exec_lo, s85
.LBB0_8928:                             ;   in Loop: Header=BB0_7082 Depth=1
	s_and_not1_saveexec_b32 s84, s84
; %bb.8929:                             ;   in Loop: Header=BB0_7082 Depth=1
	s_delay_alu instid0(VALU_DEP_1)
	v_or_b32_e32 v9, 0x3c00, v9
; %bb.8930:                             ;   in Loop: Header=BB0_7082 Depth=1
	s_or_b32 exec_lo, exec_lo, s84
.LBB0_8931:                             ;   in Loop: Header=BB0_7082 Depth=1
	s_and_not1_saveexec_b32 s83, s83
; %bb.8932:                             ;   in Loop: Header=BB0_7082 Depth=1
	s_delay_alu instid0(VALU_DEP_1)
	v_or_b32_e32 v9, 0x4000, v9
; %bb.8933:                             ;   in Loop: Header=BB0_7082 Depth=1
	s_or_b32 exec_lo, exec_lo, s83
.LBB0_8934:                             ;   in Loop: Header=BB0_7082 Depth=1
	s_and_not1_saveexec_b32 s82, s82
; %bb.8935:                             ;   in Loop: Header=BB0_7082 Depth=1
	s_delay_alu instid0(VALU_DEP_1)
	v_or_b32_e32 v9, 0x4400, v9
; %bb.8936:                             ;   in Loop: Header=BB0_7082 Depth=1
	s_or_b32 exec_lo, exec_lo, s82
.LBB0_8937:                             ;   in Loop: Header=BB0_7082 Depth=1
	s_and_not1_saveexec_b32 s81, s81
; %bb.8938:                             ;   in Loop: Header=BB0_7082 Depth=1
	s_delay_alu instid0(VALU_DEP_1)
	v_or_b32_e32 v9, 0x4800, v9
; %bb.8939:                             ;   in Loop: Header=BB0_7082 Depth=1
	s_or_b32 exec_lo, exec_lo, s81
.LBB0_8940:                             ;   in Loop: Header=BB0_7082 Depth=1
	s_and_not1_saveexec_b32 s80, s80
; %bb.8941:                             ;   in Loop: Header=BB0_7082 Depth=1
	s_delay_alu instid0(VALU_DEP_1)
	v_or_b32_e32 v9, 0x4c00, v9
; %bb.8942:                             ;   in Loop: Header=BB0_7082 Depth=1
	s_or_b32 exec_lo, exec_lo, s80
.LBB0_8943:                             ;   in Loop: Header=BB0_7082 Depth=1
	s_and_not1_saveexec_b32 s79, s79
; %bb.8944:                             ;   in Loop: Header=BB0_7082 Depth=1
	s_delay_alu instid0(VALU_DEP_1)
	v_or_b32_e32 v9, 0x5000, v9
; %bb.8945:                             ;   in Loop: Header=BB0_7082 Depth=1
	s_or_b32 exec_lo, exec_lo, s79
.LBB0_8946:                             ;   in Loop: Header=BB0_7082 Depth=1
	s_and_not1_saveexec_b32 s78, s78
; %bb.8947:                             ;   in Loop: Header=BB0_7082 Depth=1
	s_delay_alu instid0(VALU_DEP_1)
	v_or_b32_e32 v9, 0x5400, v9
; %bb.8948:                             ;   in Loop: Header=BB0_7082 Depth=1
	s_or_b32 exec_lo, exec_lo, s78
.LBB0_8949:                             ;   in Loop: Header=BB0_7082 Depth=1
	s_and_not1_saveexec_b32 s77, s77
; %bb.8950:                             ;   in Loop: Header=BB0_7082 Depth=1
	s_delay_alu instid0(VALU_DEP_1)
	v_or_b32_e32 v9, 0x5800, v9
; %bb.8951:                             ;   in Loop: Header=BB0_7082 Depth=1
	s_or_b32 exec_lo, exec_lo, s77
.LBB0_8952:                             ;   in Loop: Header=BB0_7082 Depth=1
	s_and_not1_saveexec_b32 s76, s76
; %bb.8953:                             ;   in Loop: Header=BB0_7082 Depth=1
	s_delay_alu instid0(VALU_DEP_1)
	v_or_b32_e32 v9, 0x5c00, v9
; %bb.8954:                             ;   in Loop: Header=BB0_7082 Depth=1
	s_or_b32 exec_lo, exec_lo, s76
.LBB0_8955:                             ;   in Loop: Header=BB0_7082 Depth=1
	s_and_not1_saveexec_b32 s75, s75
; %bb.8956:                             ;   in Loop: Header=BB0_7082 Depth=1
	s_delay_alu instid0(VALU_DEP_1)
	v_or_b32_e32 v9, 0x6000, v9
; %bb.8957:                             ;   in Loop: Header=BB0_7082 Depth=1
	s_or_b32 exec_lo, exec_lo, s75
.LBB0_8958:                             ;   in Loop: Header=BB0_7082 Depth=1
	s_and_not1_saveexec_b32 s74, s74
; %bb.8959:                             ;   in Loop: Header=BB0_7082 Depth=1
	s_delay_alu instid0(VALU_DEP_1)
	v_or_b32_e32 v9, 0x6400, v9
; %bb.8960:                             ;   in Loop: Header=BB0_7082 Depth=1
	s_or_b32 exec_lo, exec_lo, s74
.LBB0_8961:                             ;   in Loop: Header=BB0_7082 Depth=1
	s_and_not1_saveexec_b32 s73, s73
; %bb.8962:                             ;   in Loop: Header=BB0_7082 Depth=1
	s_delay_alu instid0(VALU_DEP_1)
	v_or_b32_e32 v9, 0x6800, v9
; %bb.8963:                             ;   in Loop: Header=BB0_7082 Depth=1
	s_or_b32 exec_lo, exec_lo, s73
.LBB0_8964:                             ;   in Loop: Header=BB0_7082 Depth=1
	s_and_not1_saveexec_b32 s72, s72
; %bb.8965:                             ;   in Loop: Header=BB0_7082 Depth=1
	s_delay_alu instid0(VALU_DEP_1)
	v_or_b32_e32 v9, 0x6c00, v9
; %bb.8966:                             ;   in Loop: Header=BB0_7082 Depth=1
	s_or_b32 exec_lo, exec_lo, s72
.LBB0_8967:                             ;   in Loop: Header=BB0_7082 Depth=1
	s_and_not1_saveexec_b32 s71, s71
; %bb.8968:                             ;   in Loop: Header=BB0_7082 Depth=1
	s_delay_alu instid0(VALU_DEP_1)
	v_or_b32_e32 v9, 0x7000, v9
; %bb.8969:                             ;   in Loop: Header=BB0_7082 Depth=1
	s_or_b32 exec_lo, exec_lo, s71
.LBB0_8970:                             ;   in Loop: Header=BB0_7082 Depth=1
	s_and_not1_saveexec_b32 s70, s70
; %bb.8971:                             ;   in Loop: Header=BB0_7082 Depth=1
	s_delay_alu instid0(VALU_DEP_1)
	v_or_b32_e32 v9, 0x7400, v9
; %bb.8972:                             ;   in Loop: Header=BB0_7082 Depth=1
	s_or_b32 exec_lo, exec_lo, s70
.LBB0_8973:                             ;   in Loop: Header=BB0_7082 Depth=1
	s_and_not1_saveexec_b32 s69, s69
; %bb.8974:                             ;   in Loop: Header=BB0_7082 Depth=1
	s_delay_alu instid0(VALU_DEP_1)
	v_or_b32_e32 v9, 0x7800, v9
; %bb.8975:                             ;   in Loop: Header=BB0_7082 Depth=1
	s_or_b32 exec_lo, exec_lo, s69
.LBB0_8976:                             ;   in Loop: Header=BB0_7082 Depth=1
	s_and_not1_saveexec_b32 s68, s68
; %bb.8977:                             ;   in Loop: Header=BB0_7082 Depth=1
	s_delay_alu instid0(VALU_DEP_1)
	v_or_b32_e32 v9, 0x7c00, v9
; %bb.8978:                             ;   in Loop: Header=BB0_7082 Depth=1
	s_or_b32 exec_lo, exec_lo, s68
	v_mov_b32_e32 v0, s62
	s_mov_b32 s68, exec_lo
	ds_load_2addr_b64 v[12:15], v0 offset0:54 offset1:55
	ds_load_b64 v[16:17], v0 offset:448
	s_wait_dscnt 0x1
	v_mul_f64_e32 v[0:1], v[4:5], v[14:15]
	s_delay_alu instid0(VALU_DEP_1) | instskip(SKIP_1) | instid1(VALU_DEP_1)
	v_fmac_f64_e32 v[0:1], v[2:3], v[12:13]
	s_wait_dscnt 0x0
	v_fmac_f64_e32 v[0:1], v[6:7], v[16:17]
	s_delay_alu instid0(VALU_DEP_1)
	v_cmpx_ngt_f64_e32 s[60:61], v[0:1]
	s_xor_b32 s68, exec_lo, s68
	s_cbranch_execz .LBB0_9098
; %bb.8979:                             ;   in Loop: Header=BB0_7082 Depth=1
	s_mov_b32 s69, exec_lo
	v_cmpx_ngt_f64_e32 s[66:67], v[0:1]
	s_xor_b32 s69, exec_lo, s69
	s_cbranch_execz .LBB0_9095
; %bb.8980:                             ;   in Loop: Header=BB0_7082 Depth=1
	s_mov_b32 s70, exec_lo
	;; [unrolled: 5-line block ×30, first 2 shown]
	v_cmpx_gt_f64_e32 s[36:37], v[0:1]
; %bb.9009:                             ;   in Loop: Header=BB0_7082 Depth=1
	v_add_nc_u32_e32 v9, 0x40000, v9
; %bb.9010:                             ;   in Loop: Header=BB0_7082 Depth=1
	s_or_b32 exec_lo, exec_lo, s98
.LBB0_9011:                             ;   in Loop: Header=BB0_7082 Depth=1
	s_and_not1_saveexec_b32 s97, s97
; %bb.9012:                             ;   in Loop: Header=BB0_7082 Depth=1
	s_delay_alu instid0(VALU_DEP_1)
	v_add_nc_u32_e32 v9, 0x80000, v9
; %bb.9013:                             ;   in Loop: Header=BB0_7082 Depth=1
	s_or_b32 exec_lo, exec_lo, s97
.LBB0_9014:                             ;   in Loop: Header=BB0_7082 Depth=1
	s_and_not1_saveexec_b32 s96, s96
; %bb.9015:                             ;   in Loop: Header=BB0_7082 Depth=1
	s_delay_alu instid0(VALU_DEP_1)
	v_add_nc_u32_e32 v9, 0xc0000, v9
; %bb.9016:                             ;   in Loop: Header=BB0_7082 Depth=1
	s_or_b32 exec_lo, exec_lo, s96
.LBB0_9017:                             ;   in Loop: Header=BB0_7082 Depth=1
	s_and_not1_saveexec_b32 s95, s95
; %bb.9018:                             ;   in Loop: Header=BB0_7082 Depth=1
	s_delay_alu instid0(VALU_DEP_1)
	v_add_nc_u32_e32 v9, 0x100000, v9
; %bb.9019:                             ;   in Loop: Header=BB0_7082 Depth=1
	s_or_b32 exec_lo, exec_lo, s95
.LBB0_9020:                             ;   in Loop: Header=BB0_7082 Depth=1
	s_and_not1_saveexec_b32 s94, s94
; %bb.9021:                             ;   in Loop: Header=BB0_7082 Depth=1
	s_delay_alu instid0(VALU_DEP_1)
	v_add_nc_u32_e32 v9, 0x140000, v9
; %bb.9022:                             ;   in Loop: Header=BB0_7082 Depth=1
	s_or_b32 exec_lo, exec_lo, s94
.LBB0_9023:                             ;   in Loop: Header=BB0_7082 Depth=1
	s_and_not1_saveexec_b32 s93, s93
; %bb.9024:                             ;   in Loop: Header=BB0_7082 Depth=1
	s_delay_alu instid0(VALU_DEP_1)
	v_add_nc_u32_e32 v9, 0x180000, v9
; %bb.9025:                             ;   in Loop: Header=BB0_7082 Depth=1
	s_or_b32 exec_lo, exec_lo, s93
.LBB0_9026:                             ;   in Loop: Header=BB0_7082 Depth=1
	s_and_not1_saveexec_b32 s92, s92
; %bb.9027:                             ;   in Loop: Header=BB0_7082 Depth=1
	s_delay_alu instid0(VALU_DEP_1)
	v_add_nc_u32_e32 v9, 0x1c0000, v9
; %bb.9028:                             ;   in Loop: Header=BB0_7082 Depth=1
	s_or_b32 exec_lo, exec_lo, s92
.LBB0_9029:                             ;   in Loop: Header=BB0_7082 Depth=1
	s_and_not1_saveexec_b32 s91, s91
; %bb.9030:                             ;   in Loop: Header=BB0_7082 Depth=1
	s_delay_alu instid0(VALU_DEP_1)
	v_add_nc_u32_e32 v9, 0x200000, v9
; %bb.9031:                             ;   in Loop: Header=BB0_7082 Depth=1
	s_or_b32 exec_lo, exec_lo, s91
.LBB0_9032:                             ;   in Loop: Header=BB0_7082 Depth=1
	s_and_not1_saveexec_b32 s90, s90
; %bb.9033:                             ;   in Loop: Header=BB0_7082 Depth=1
	s_delay_alu instid0(VALU_DEP_1)
	v_add_nc_u32_e32 v9, 0x240000, v9
; %bb.9034:                             ;   in Loop: Header=BB0_7082 Depth=1
	s_or_b32 exec_lo, exec_lo, s90
.LBB0_9035:                             ;   in Loop: Header=BB0_7082 Depth=1
	s_and_not1_saveexec_b32 s89, s89
; %bb.9036:                             ;   in Loop: Header=BB0_7082 Depth=1
	s_delay_alu instid0(VALU_DEP_1)
	v_add_nc_u32_e32 v9, 0x280000, v9
; %bb.9037:                             ;   in Loop: Header=BB0_7082 Depth=1
	s_or_b32 exec_lo, exec_lo, s89
.LBB0_9038:                             ;   in Loop: Header=BB0_7082 Depth=1
	s_and_not1_saveexec_b32 s88, s88
; %bb.9039:                             ;   in Loop: Header=BB0_7082 Depth=1
	s_delay_alu instid0(VALU_DEP_1)
	v_add_nc_u32_e32 v9, 0x2c0000, v9
; %bb.9040:                             ;   in Loop: Header=BB0_7082 Depth=1
	s_or_b32 exec_lo, exec_lo, s88
.LBB0_9041:                             ;   in Loop: Header=BB0_7082 Depth=1
	s_and_not1_saveexec_b32 s87, s87
; %bb.9042:                             ;   in Loop: Header=BB0_7082 Depth=1
	s_delay_alu instid0(VALU_DEP_1)
	v_add_nc_u32_e32 v9, 0x300000, v9
; %bb.9043:                             ;   in Loop: Header=BB0_7082 Depth=1
	s_or_b32 exec_lo, exec_lo, s87
.LBB0_9044:                             ;   in Loop: Header=BB0_7082 Depth=1
	s_and_not1_saveexec_b32 s86, s86
; %bb.9045:                             ;   in Loop: Header=BB0_7082 Depth=1
	s_delay_alu instid0(VALU_DEP_1)
	v_add_nc_u32_e32 v9, 0x340000, v9
; %bb.9046:                             ;   in Loop: Header=BB0_7082 Depth=1
	s_or_b32 exec_lo, exec_lo, s86
.LBB0_9047:                             ;   in Loop: Header=BB0_7082 Depth=1
	s_and_not1_saveexec_b32 s85, s85
; %bb.9048:                             ;   in Loop: Header=BB0_7082 Depth=1
	s_delay_alu instid0(VALU_DEP_1)
	v_add_nc_u32_e32 v9, 0x380000, v9
; %bb.9049:                             ;   in Loop: Header=BB0_7082 Depth=1
	s_or_b32 exec_lo, exec_lo, s85
.LBB0_9050:                             ;   in Loop: Header=BB0_7082 Depth=1
	s_and_not1_saveexec_b32 s84, s84
; %bb.9051:                             ;   in Loop: Header=BB0_7082 Depth=1
	s_delay_alu instid0(VALU_DEP_1)
	v_add_nc_u32_e32 v9, 0x3c0000, v9
; %bb.9052:                             ;   in Loop: Header=BB0_7082 Depth=1
	s_or_b32 exec_lo, exec_lo, s84
.LBB0_9053:                             ;   in Loop: Header=BB0_7082 Depth=1
	s_and_not1_saveexec_b32 s83, s83
; %bb.9054:                             ;   in Loop: Header=BB0_7082 Depth=1
	s_delay_alu instid0(VALU_DEP_1)
	v_add_nc_u32_e32 v9, 0x400000, v9
; %bb.9055:                             ;   in Loop: Header=BB0_7082 Depth=1
	s_or_b32 exec_lo, exec_lo, s83
.LBB0_9056:                             ;   in Loop: Header=BB0_7082 Depth=1
	s_and_not1_saveexec_b32 s82, s82
; %bb.9057:                             ;   in Loop: Header=BB0_7082 Depth=1
	s_delay_alu instid0(VALU_DEP_1)
	v_add_nc_u32_e32 v9, 0x440000, v9
; %bb.9058:                             ;   in Loop: Header=BB0_7082 Depth=1
	s_or_b32 exec_lo, exec_lo, s82
.LBB0_9059:                             ;   in Loop: Header=BB0_7082 Depth=1
	s_and_not1_saveexec_b32 s81, s81
; %bb.9060:                             ;   in Loop: Header=BB0_7082 Depth=1
	s_delay_alu instid0(VALU_DEP_1)
	v_add_nc_u32_e32 v9, 0x480000, v9
; %bb.9061:                             ;   in Loop: Header=BB0_7082 Depth=1
	s_or_b32 exec_lo, exec_lo, s81
.LBB0_9062:                             ;   in Loop: Header=BB0_7082 Depth=1
	s_and_not1_saveexec_b32 s80, s80
; %bb.9063:                             ;   in Loop: Header=BB0_7082 Depth=1
	s_delay_alu instid0(VALU_DEP_1)
	v_add_nc_u32_e32 v9, 0x4c0000, v9
; %bb.9064:                             ;   in Loop: Header=BB0_7082 Depth=1
	s_or_b32 exec_lo, exec_lo, s80
.LBB0_9065:                             ;   in Loop: Header=BB0_7082 Depth=1
	s_and_not1_saveexec_b32 s79, s79
; %bb.9066:                             ;   in Loop: Header=BB0_7082 Depth=1
	s_delay_alu instid0(VALU_DEP_1)
	v_add_nc_u32_e32 v9, 0x500000, v9
; %bb.9067:                             ;   in Loop: Header=BB0_7082 Depth=1
	s_or_b32 exec_lo, exec_lo, s79
.LBB0_9068:                             ;   in Loop: Header=BB0_7082 Depth=1
	s_and_not1_saveexec_b32 s78, s78
; %bb.9069:                             ;   in Loop: Header=BB0_7082 Depth=1
	s_delay_alu instid0(VALU_DEP_1)
	v_add_nc_u32_e32 v9, 0x540000, v9
; %bb.9070:                             ;   in Loop: Header=BB0_7082 Depth=1
	s_or_b32 exec_lo, exec_lo, s78
.LBB0_9071:                             ;   in Loop: Header=BB0_7082 Depth=1
	s_and_not1_saveexec_b32 s77, s77
; %bb.9072:                             ;   in Loop: Header=BB0_7082 Depth=1
	s_delay_alu instid0(VALU_DEP_1)
	v_add_nc_u32_e32 v9, 0x580000, v9
; %bb.9073:                             ;   in Loop: Header=BB0_7082 Depth=1
	s_or_b32 exec_lo, exec_lo, s77
.LBB0_9074:                             ;   in Loop: Header=BB0_7082 Depth=1
	s_and_not1_saveexec_b32 s76, s76
; %bb.9075:                             ;   in Loop: Header=BB0_7082 Depth=1
	s_delay_alu instid0(VALU_DEP_1)
	v_add_nc_u32_e32 v9, 0x5c0000, v9
; %bb.9076:                             ;   in Loop: Header=BB0_7082 Depth=1
	s_or_b32 exec_lo, exec_lo, s76
.LBB0_9077:                             ;   in Loop: Header=BB0_7082 Depth=1
	s_and_not1_saveexec_b32 s75, s75
; %bb.9078:                             ;   in Loop: Header=BB0_7082 Depth=1
	s_delay_alu instid0(VALU_DEP_1)
	v_add_nc_u32_e32 v9, 0x600000, v9
; %bb.9079:                             ;   in Loop: Header=BB0_7082 Depth=1
	s_or_b32 exec_lo, exec_lo, s75
.LBB0_9080:                             ;   in Loop: Header=BB0_7082 Depth=1
	s_and_not1_saveexec_b32 s74, s74
; %bb.9081:                             ;   in Loop: Header=BB0_7082 Depth=1
	s_delay_alu instid0(VALU_DEP_1)
	v_add_nc_u32_e32 v9, 0x640000, v9
; %bb.9082:                             ;   in Loop: Header=BB0_7082 Depth=1
	s_or_b32 exec_lo, exec_lo, s74
.LBB0_9083:                             ;   in Loop: Header=BB0_7082 Depth=1
	s_and_not1_saveexec_b32 s73, s73
; %bb.9084:                             ;   in Loop: Header=BB0_7082 Depth=1
	s_delay_alu instid0(VALU_DEP_1)
	v_add_nc_u32_e32 v9, 0x680000, v9
; %bb.9085:                             ;   in Loop: Header=BB0_7082 Depth=1
	s_or_b32 exec_lo, exec_lo, s73
.LBB0_9086:                             ;   in Loop: Header=BB0_7082 Depth=1
	s_and_not1_saveexec_b32 s72, s72
; %bb.9087:                             ;   in Loop: Header=BB0_7082 Depth=1
	s_delay_alu instid0(VALU_DEP_1)
	v_add_nc_u32_e32 v9, 0x6c0000, v9
; %bb.9088:                             ;   in Loop: Header=BB0_7082 Depth=1
	s_or_b32 exec_lo, exec_lo, s72
.LBB0_9089:                             ;   in Loop: Header=BB0_7082 Depth=1
	s_and_not1_saveexec_b32 s71, s71
; %bb.9090:                             ;   in Loop: Header=BB0_7082 Depth=1
	s_delay_alu instid0(VALU_DEP_1)
	v_add_nc_u32_e32 v9, 0x700000, v9
; %bb.9091:                             ;   in Loop: Header=BB0_7082 Depth=1
	s_or_b32 exec_lo, exec_lo, s71
.LBB0_9092:                             ;   in Loop: Header=BB0_7082 Depth=1
	s_and_not1_saveexec_b32 s70, s70
; %bb.9093:                             ;   in Loop: Header=BB0_7082 Depth=1
	s_delay_alu instid0(VALU_DEP_1)
	v_add_nc_u32_e32 v9, 0x740000, v9
; %bb.9094:                             ;   in Loop: Header=BB0_7082 Depth=1
	s_or_b32 exec_lo, exec_lo, s70
.LBB0_9095:                             ;   in Loop: Header=BB0_7082 Depth=1
	s_and_not1_saveexec_b32 s69, s69
; %bb.9096:                             ;   in Loop: Header=BB0_7082 Depth=1
	s_delay_alu instid0(VALU_DEP_1)
	v_add_nc_u32_e32 v9, 0x780000, v9
; %bb.9097:                             ;   in Loop: Header=BB0_7082 Depth=1
	s_or_b32 exec_lo, exec_lo, s69
.LBB0_9098:                             ;   in Loop: Header=BB0_7082 Depth=1
	s_and_not1_saveexec_b32 s68, s68
; %bb.9099:                             ;   in Loop: Header=BB0_7082 Depth=1
	s_delay_alu instid0(VALU_DEP_1)
	v_add_nc_u32_e32 v9, 0x7c0000, v9
; %bb.9100:                             ;   in Loop: Header=BB0_7082 Depth=1
	s_or_b32 exec_lo, exec_lo, s68
	v_mov_b32_e32 v0, s62
	s_mov_b32 s68, exec_lo
	ds_load_2addr_b64 v[12:15], v0 offset0:57 offset1:58
	ds_load_b64 v[16:17], v0 offset:472
	s_wait_dscnt 0x1
	v_mul_f64_e32 v[0:1], v[4:5], v[14:15]
	s_delay_alu instid0(VALU_DEP_1) | instskip(SKIP_1) | instid1(VALU_DEP_1)
	v_fmac_f64_e32 v[0:1], v[2:3], v[12:13]
	s_wait_dscnt 0x0
	v_fmac_f64_e32 v[0:1], v[6:7], v[16:17]
	s_delay_alu instid0(VALU_DEP_1)
	v_cmpx_ngt_f64_e32 s[60:61], v[0:1]
	s_xor_b32 s68, exec_lo, s68
	s_cbranch_execz .LBB0_9220
; %bb.9101:                             ;   in Loop: Header=BB0_7082 Depth=1
	s_mov_b32 s69, exec_lo
	v_cmpx_ngt_f64_e32 s[66:67], v[0:1]
	s_xor_b32 s69, exec_lo, s69
	s_cbranch_execz .LBB0_9217
; %bb.9102:                             ;   in Loop: Header=BB0_7082 Depth=1
	s_mov_b32 s70, exec_lo
	;; [unrolled: 5-line block ×30, first 2 shown]
	v_cmpx_gt_f64_e32 s[36:37], v[0:1]
; %bb.9131:                             ;   in Loop: Header=BB0_7082 Depth=1
	v_add_nc_u32_e32 v9, 0x4000000, v9
; %bb.9132:                             ;   in Loop: Header=BB0_7082 Depth=1
	s_or_b32 exec_lo, exec_lo, s98
.LBB0_9133:                             ;   in Loop: Header=BB0_7082 Depth=1
	s_and_not1_saveexec_b32 s97, s97
; %bb.9134:                             ;   in Loop: Header=BB0_7082 Depth=1
	s_delay_alu instid0(VALU_DEP_1)
	v_add_nc_u32_e32 v9, 0x8000000, v9
; %bb.9135:                             ;   in Loop: Header=BB0_7082 Depth=1
	s_or_b32 exec_lo, exec_lo, s97
.LBB0_9136:                             ;   in Loop: Header=BB0_7082 Depth=1
	s_and_not1_saveexec_b32 s96, s96
; %bb.9137:                             ;   in Loop: Header=BB0_7082 Depth=1
	s_delay_alu instid0(VALU_DEP_1)
	v_add_nc_u32_e32 v9, 0xc000000, v9
; %bb.9138:                             ;   in Loop: Header=BB0_7082 Depth=1
	s_or_b32 exec_lo, exec_lo, s96
.LBB0_9139:                             ;   in Loop: Header=BB0_7082 Depth=1
	s_and_not1_saveexec_b32 s95, s95
; %bb.9140:                             ;   in Loop: Header=BB0_7082 Depth=1
	s_delay_alu instid0(VALU_DEP_1)
	v_add_nc_u32_e32 v9, 0x10000000, v9
; %bb.9141:                             ;   in Loop: Header=BB0_7082 Depth=1
	s_or_b32 exec_lo, exec_lo, s95
.LBB0_9142:                             ;   in Loop: Header=BB0_7082 Depth=1
	s_and_not1_saveexec_b32 s94, s94
; %bb.9143:                             ;   in Loop: Header=BB0_7082 Depth=1
	s_delay_alu instid0(VALU_DEP_1)
	v_add_nc_u32_e32 v9, 0x14000000, v9
; %bb.9144:                             ;   in Loop: Header=BB0_7082 Depth=1
	s_or_b32 exec_lo, exec_lo, s94
.LBB0_9145:                             ;   in Loop: Header=BB0_7082 Depth=1
	s_and_not1_saveexec_b32 s93, s93
; %bb.9146:                             ;   in Loop: Header=BB0_7082 Depth=1
	s_delay_alu instid0(VALU_DEP_1)
	v_add_nc_u32_e32 v9, 0x18000000, v9
; %bb.9147:                             ;   in Loop: Header=BB0_7082 Depth=1
	s_or_b32 exec_lo, exec_lo, s93
.LBB0_9148:                             ;   in Loop: Header=BB0_7082 Depth=1
	s_and_not1_saveexec_b32 s92, s92
; %bb.9149:                             ;   in Loop: Header=BB0_7082 Depth=1
	s_delay_alu instid0(VALU_DEP_1)
	v_add_nc_u32_e32 v9, 0x1c000000, v9
; %bb.9150:                             ;   in Loop: Header=BB0_7082 Depth=1
	s_or_b32 exec_lo, exec_lo, s92
.LBB0_9151:                             ;   in Loop: Header=BB0_7082 Depth=1
	s_and_not1_saveexec_b32 s91, s91
; %bb.9152:                             ;   in Loop: Header=BB0_7082 Depth=1
	s_delay_alu instid0(VALU_DEP_1)
	v_add_nc_u32_e32 v9, 0x20000000, v9
; %bb.9153:                             ;   in Loop: Header=BB0_7082 Depth=1
	s_or_b32 exec_lo, exec_lo, s91
.LBB0_9154:                             ;   in Loop: Header=BB0_7082 Depth=1
	s_and_not1_saveexec_b32 s90, s90
; %bb.9155:                             ;   in Loop: Header=BB0_7082 Depth=1
	s_delay_alu instid0(VALU_DEP_1)
	v_add_nc_u32_e32 v9, 0x24000000, v9
; %bb.9156:                             ;   in Loop: Header=BB0_7082 Depth=1
	s_or_b32 exec_lo, exec_lo, s90
.LBB0_9157:                             ;   in Loop: Header=BB0_7082 Depth=1
	s_and_not1_saveexec_b32 s89, s89
; %bb.9158:                             ;   in Loop: Header=BB0_7082 Depth=1
	s_delay_alu instid0(VALU_DEP_1)
	v_add_nc_u32_e32 v9, 0x28000000, v9
; %bb.9159:                             ;   in Loop: Header=BB0_7082 Depth=1
	s_or_b32 exec_lo, exec_lo, s89
.LBB0_9160:                             ;   in Loop: Header=BB0_7082 Depth=1
	s_and_not1_saveexec_b32 s88, s88
; %bb.9161:                             ;   in Loop: Header=BB0_7082 Depth=1
	s_delay_alu instid0(VALU_DEP_1)
	v_add_nc_u32_e32 v9, 0x2c000000, v9
; %bb.9162:                             ;   in Loop: Header=BB0_7082 Depth=1
	s_or_b32 exec_lo, exec_lo, s88
.LBB0_9163:                             ;   in Loop: Header=BB0_7082 Depth=1
	s_and_not1_saveexec_b32 s87, s87
; %bb.9164:                             ;   in Loop: Header=BB0_7082 Depth=1
	s_delay_alu instid0(VALU_DEP_1)
	v_add_nc_u32_e32 v9, 0x30000000, v9
; %bb.9165:                             ;   in Loop: Header=BB0_7082 Depth=1
	s_or_b32 exec_lo, exec_lo, s87
.LBB0_9166:                             ;   in Loop: Header=BB0_7082 Depth=1
	s_and_not1_saveexec_b32 s86, s86
; %bb.9167:                             ;   in Loop: Header=BB0_7082 Depth=1
	s_delay_alu instid0(VALU_DEP_1)
	v_add_nc_u32_e32 v9, 0x34000000, v9
; %bb.9168:                             ;   in Loop: Header=BB0_7082 Depth=1
	s_or_b32 exec_lo, exec_lo, s86
.LBB0_9169:                             ;   in Loop: Header=BB0_7082 Depth=1
	s_and_not1_saveexec_b32 s85, s85
; %bb.9170:                             ;   in Loop: Header=BB0_7082 Depth=1
	s_delay_alu instid0(VALU_DEP_1)
	v_add_nc_u32_e32 v9, 0x38000000, v9
; %bb.9171:                             ;   in Loop: Header=BB0_7082 Depth=1
	s_or_b32 exec_lo, exec_lo, s85
.LBB0_9172:                             ;   in Loop: Header=BB0_7082 Depth=1
	s_and_not1_saveexec_b32 s84, s84
; %bb.9173:                             ;   in Loop: Header=BB0_7082 Depth=1
	s_delay_alu instid0(VALU_DEP_1)
	v_add_nc_u32_e32 v9, 0x3c000000, v9
; %bb.9174:                             ;   in Loop: Header=BB0_7082 Depth=1
	s_or_b32 exec_lo, exec_lo, s84
.LBB0_9175:                             ;   in Loop: Header=BB0_7082 Depth=1
	s_and_not1_saveexec_b32 s83, s83
; %bb.9176:                             ;   in Loop: Header=BB0_7082 Depth=1
	s_delay_alu instid0(VALU_DEP_1)
	v_add_nc_u32_e32 v9, 2.0, v9
; %bb.9177:                             ;   in Loop: Header=BB0_7082 Depth=1
	s_or_b32 exec_lo, exec_lo, s83
.LBB0_9178:                             ;   in Loop: Header=BB0_7082 Depth=1
	s_and_not1_saveexec_b32 s82, s82
; %bb.9179:                             ;   in Loop: Header=BB0_7082 Depth=1
	s_delay_alu instid0(VALU_DEP_1)
	v_add_nc_u32_e32 v9, 0x44000000, v9
; %bb.9180:                             ;   in Loop: Header=BB0_7082 Depth=1
	s_or_b32 exec_lo, exec_lo, s82
.LBB0_9181:                             ;   in Loop: Header=BB0_7082 Depth=1
	s_and_not1_saveexec_b32 s81, s81
; %bb.9182:                             ;   in Loop: Header=BB0_7082 Depth=1
	s_delay_alu instid0(VALU_DEP_1)
	v_add_nc_u32_e32 v9, 0x48000000, v9
; %bb.9183:                             ;   in Loop: Header=BB0_7082 Depth=1
	s_or_b32 exec_lo, exec_lo, s81
.LBB0_9184:                             ;   in Loop: Header=BB0_7082 Depth=1
	s_and_not1_saveexec_b32 s80, s80
; %bb.9185:                             ;   in Loop: Header=BB0_7082 Depth=1
	s_delay_alu instid0(VALU_DEP_1)
	v_add_nc_u32_e32 v9, 0x4c000000, v9
; %bb.9186:                             ;   in Loop: Header=BB0_7082 Depth=1
	s_or_b32 exec_lo, exec_lo, s80
.LBB0_9187:                             ;   in Loop: Header=BB0_7082 Depth=1
	s_and_not1_saveexec_b32 s79, s79
; %bb.9188:                             ;   in Loop: Header=BB0_7082 Depth=1
	s_delay_alu instid0(VALU_DEP_1)
	v_add_nc_u32_e32 v9, 0x50000000, v9
; %bb.9189:                             ;   in Loop: Header=BB0_7082 Depth=1
	s_or_b32 exec_lo, exec_lo, s79
.LBB0_9190:                             ;   in Loop: Header=BB0_7082 Depth=1
	s_and_not1_saveexec_b32 s78, s78
; %bb.9191:                             ;   in Loop: Header=BB0_7082 Depth=1
	s_delay_alu instid0(VALU_DEP_1)
	v_add_nc_u32_e32 v9, 0x54000000, v9
; %bb.9192:                             ;   in Loop: Header=BB0_7082 Depth=1
	s_or_b32 exec_lo, exec_lo, s78
.LBB0_9193:                             ;   in Loop: Header=BB0_7082 Depth=1
	s_and_not1_saveexec_b32 s77, s77
; %bb.9194:                             ;   in Loop: Header=BB0_7082 Depth=1
	s_delay_alu instid0(VALU_DEP_1)
	v_add_nc_u32_e32 v9, 0x58000000, v9
; %bb.9195:                             ;   in Loop: Header=BB0_7082 Depth=1
	s_or_b32 exec_lo, exec_lo, s77
.LBB0_9196:                             ;   in Loop: Header=BB0_7082 Depth=1
	s_and_not1_saveexec_b32 s76, s76
; %bb.9197:                             ;   in Loop: Header=BB0_7082 Depth=1
	s_delay_alu instid0(VALU_DEP_1)
	v_add_nc_u32_e32 v9, 0x5c000000, v9
; %bb.9198:                             ;   in Loop: Header=BB0_7082 Depth=1
	s_or_b32 exec_lo, exec_lo, s76
.LBB0_9199:                             ;   in Loop: Header=BB0_7082 Depth=1
	s_and_not1_saveexec_b32 s75, s75
; %bb.9200:                             ;   in Loop: Header=BB0_7082 Depth=1
	s_delay_alu instid0(VALU_DEP_1)
	v_add_nc_u32_e32 v9, 0x60000000, v9
; %bb.9201:                             ;   in Loop: Header=BB0_7082 Depth=1
	s_or_b32 exec_lo, exec_lo, s75
.LBB0_9202:                             ;   in Loop: Header=BB0_7082 Depth=1
	s_and_not1_saveexec_b32 s74, s74
; %bb.9203:                             ;   in Loop: Header=BB0_7082 Depth=1
	s_delay_alu instid0(VALU_DEP_1)
	v_add_nc_u32_e32 v9, 0x64000000, v9
; %bb.9204:                             ;   in Loop: Header=BB0_7082 Depth=1
	s_or_b32 exec_lo, exec_lo, s74
.LBB0_9205:                             ;   in Loop: Header=BB0_7082 Depth=1
	s_and_not1_saveexec_b32 s73, s73
; %bb.9206:                             ;   in Loop: Header=BB0_7082 Depth=1
	s_delay_alu instid0(VALU_DEP_1)
	v_add_nc_u32_e32 v9, 0x68000000, v9
; %bb.9207:                             ;   in Loop: Header=BB0_7082 Depth=1
	s_or_b32 exec_lo, exec_lo, s73
.LBB0_9208:                             ;   in Loop: Header=BB0_7082 Depth=1
	s_and_not1_saveexec_b32 s72, s72
; %bb.9209:                             ;   in Loop: Header=BB0_7082 Depth=1
	s_delay_alu instid0(VALU_DEP_1)
	v_add_nc_u32_e32 v9, 0x6c000000, v9
; %bb.9210:                             ;   in Loop: Header=BB0_7082 Depth=1
	s_or_b32 exec_lo, exec_lo, s72
.LBB0_9211:                             ;   in Loop: Header=BB0_7082 Depth=1
	s_and_not1_saveexec_b32 s71, s71
; %bb.9212:                             ;   in Loop: Header=BB0_7082 Depth=1
	s_delay_alu instid0(VALU_DEP_1)
	v_add_nc_u32_e32 v9, 0x70000000, v9
; %bb.9213:                             ;   in Loop: Header=BB0_7082 Depth=1
	s_or_b32 exec_lo, exec_lo, s71
.LBB0_9214:                             ;   in Loop: Header=BB0_7082 Depth=1
	s_and_not1_saveexec_b32 s70, s70
; %bb.9215:                             ;   in Loop: Header=BB0_7082 Depth=1
	s_delay_alu instid0(VALU_DEP_1)
	v_add_nc_u32_e32 v9, 0x74000000, v9
; %bb.9216:                             ;   in Loop: Header=BB0_7082 Depth=1
	s_or_b32 exec_lo, exec_lo, s70
.LBB0_9217:                             ;   in Loop: Header=BB0_7082 Depth=1
	s_and_not1_saveexec_b32 s69, s69
; %bb.9218:                             ;   in Loop: Header=BB0_7082 Depth=1
	s_delay_alu instid0(VALU_DEP_1)
	v_add_nc_u32_e32 v9, 0x78000000, v9
; %bb.9219:                             ;   in Loop: Header=BB0_7082 Depth=1
	s_or_b32 exec_lo, exec_lo, s69
.LBB0_9220:                             ;   in Loop: Header=BB0_7082 Depth=1
	s_and_not1_saveexec_b32 s68, s68
; %bb.9221:                             ;   in Loop: Header=BB0_7082 Depth=1
	s_delay_alu instid0(VALU_DEP_1)
	v_add_nc_u32_e32 v9, 0x7c000000, v9
; %bb.9222:                             ;   in Loop: Header=BB0_7082 Depth=1
	s_or_b32 exec_lo, exec_lo, s68
	v_mov_b32_e32 v0, s62
	v_add3_u32 v11, v10, s63, 0x10000
	v_mov_b32_e32 v8, 0x7c
	s_mov_b32 s68, exec_lo
	ds_load_2addr_b64 v[12:15], v0 offset0:60 offset1:61
	ds_load_b64 v[16:17], v0 offset:496
	global_store_b32 v11, v9, s[34:35] scale_offset
	s_wait_dscnt 0x1
	v_mul_f64_e32 v[0:1], v[4:5], v[14:15]
	s_delay_alu instid0(VALU_DEP_1) | instskip(SKIP_1) | instid1(VALU_DEP_1)
	v_fmac_f64_e32 v[0:1], v[2:3], v[12:13]
	s_wait_dscnt 0x0
	v_fmac_f64_e32 v[0:1], v[6:7], v[16:17]
	s_wait_xcnt 0x0
	s_delay_alu instid0(VALU_DEP_1)
	v_cmpx_ngt_f64_e32 s[60:61], v[0:1]
	s_cbranch_execz .LBB0_9284
; %bb.9223:                             ;   in Loop: Header=BB0_7082 Depth=1
	v_mov_b32_e32 v8, 0x78
	s_mov_b32 s69, exec_lo
	v_cmpx_ngt_f64_e32 s[66:67], v[0:1]
	s_cbranch_execz .LBB0_9283
; %bb.9224:                             ;   in Loop: Header=BB0_7082 Depth=1
	v_mov_b32_e32 v8, 0x74
	s_mov_b32 s70, exec_lo
	;; [unrolled: 5-line block ×30, first 2 shown]
	v_cmpx_gt_f64_e32 s[36:37], v[0:1]
; %bb.9253:                             ;   in Loop: Header=BB0_7082 Depth=1
	v_mov_b32_e32 v8, 4
; %bb.9254:                             ;   in Loop: Header=BB0_7082 Depth=1
	s_or_b32 exec_lo, exec_lo, s98
.LBB0_9255:                             ;   in Loop: Header=BB0_7082 Depth=1
	s_delay_alu instid0(SALU_CYCLE_1)
	s_or_b32 exec_lo, exec_lo, s97
.LBB0_9256:                             ;   in Loop: Header=BB0_7082 Depth=1
	s_delay_alu instid0(SALU_CYCLE_1)
	s_or_b32 exec_lo, exec_lo, s96
.LBB0_9257:                             ;   in Loop: Header=BB0_7082 Depth=1
	s_delay_alu instid0(SALU_CYCLE_1)
	s_or_b32 exec_lo, exec_lo, s95
.LBB0_9258:                             ;   in Loop: Header=BB0_7082 Depth=1
	s_delay_alu instid0(SALU_CYCLE_1)
	s_or_b32 exec_lo, exec_lo, s94
.LBB0_9259:                             ;   in Loop: Header=BB0_7082 Depth=1
	s_delay_alu instid0(SALU_CYCLE_1)
	s_or_b32 exec_lo, exec_lo, s93
.LBB0_9260:                             ;   in Loop: Header=BB0_7082 Depth=1
	s_delay_alu instid0(SALU_CYCLE_1)
	s_or_b32 exec_lo, exec_lo, s92
.LBB0_9261:                             ;   in Loop: Header=BB0_7082 Depth=1
	s_delay_alu instid0(SALU_CYCLE_1)
	s_or_b32 exec_lo, exec_lo, s91
.LBB0_9262:                             ;   in Loop: Header=BB0_7082 Depth=1
	s_delay_alu instid0(SALU_CYCLE_1)
	s_or_b32 exec_lo, exec_lo, s90
.LBB0_9263:                             ;   in Loop: Header=BB0_7082 Depth=1
	s_delay_alu instid0(SALU_CYCLE_1)
	s_or_b32 exec_lo, exec_lo, s89
.LBB0_9264:                             ;   in Loop: Header=BB0_7082 Depth=1
	s_delay_alu instid0(SALU_CYCLE_1)
	s_or_b32 exec_lo, exec_lo, s88
.LBB0_9265:                             ;   in Loop: Header=BB0_7082 Depth=1
	s_delay_alu instid0(SALU_CYCLE_1)
	s_or_b32 exec_lo, exec_lo, s87
.LBB0_9266:                             ;   in Loop: Header=BB0_7082 Depth=1
	s_delay_alu instid0(SALU_CYCLE_1)
	s_or_b32 exec_lo, exec_lo, s86
.LBB0_9267:                             ;   in Loop: Header=BB0_7082 Depth=1
	s_delay_alu instid0(SALU_CYCLE_1)
	s_or_b32 exec_lo, exec_lo, s85
.LBB0_9268:                             ;   in Loop: Header=BB0_7082 Depth=1
	s_delay_alu instid0(SALU_CYCLE_1)
	s_or_b32 exec_lo, exec_lo, s84
.LBB0_9269:                             ;   in Loop: Header=BB0_7082 Depth=1
	s_delay_alu instid0(SALU_CYCLE_1)
	s_or_b32 exec_lo, exec_lo, s83
.LBB0_9270:                             ;   in Loop: Header=BB0_7082 Depth=1
	s_delay_alu instid0(SALU_CYCLE_1)
	s_or_b32 exec_lo, exec_lo, s82
.LBB0_9271:                             ;   in Loop: Header=BB0_7082 Depth=1
	s_delay_alu instid0(SALU_CYCLE_1)
	s_or_b32 exec_lo, exec_lo, s81
.LBB0_9272:                             ;   in Loop: Header=BB0_7082 Depth=1
	s_delay_alu instid0(SALU_CYCLE_1)
	s_or_b32 exec_lo, exec_lo, s80
.LBB0_9273:                             ;   in Loop: Header=BB0_7082 Depth=1
	s_delay_alu instid0(SALU_CYCLE_1)
	s_or_b32 exec_lo, exec_lo, s79
.LBB0_9274:                             ;   in Loop: Header=BB0_7082 Depth=1
	s_delay_alu instid0(SALU_CYCLE_1)
	s_or_b32 exec_lo, exec_lo, s78
.LBB0_9275:                             ;   in Loop: Header=BB0_7082 Depth=1
	s_delay_alu instid0(SALU_CYCLE_1)
	s_or_b32 exec_lo, exec_lo, s77
.LBB0_9276:                             ;   in Loop: Header=BB0_7082 Depth=1
	s_delay_alu instid0(SALU_CYCLE_1)
	s_or_b32 exec_lo, exec_lo, s76
.LBB0_9277:                             ;   in Loop: Header=BB0_7082 Depth=1
	s_delay_alu instid0(SALU_CYCLE_1)
	s_or_b32 exec_lo, exec_lo, s75
.LBB0_9278:                             ;   in Loop: Header=BB0_7082 Depth=1
	s_delay_alu instid0(SALU_CYCLE_1)
	s_or_b32 exec_lo, exec_lo, s74
.LBB0_9279:                             ;   in Loop: Header=BB0_7082 Depth=1
	s_delay_alu instid0(SALU_CYCLE_1)
	s_or_b32 exec_lo, exec_lo, s73
.LBB0_9280:                             ;   in Loop: Header=BB0_7082 Depth=1
	s_delay_alu instid0(SALU_CYCLE_1)
	s_or_b32 exec_lo, exec_lo, s72
.LBB0_9281:                             ;   in Loop: Header=BB0_7082 Depth=1
	s_delay_alu instid0(SALU_CYCLE_1)
	s_or_b32 exec_lo, exec_lo, s71
.LBB0_9282:                             ;   in Loop: Header=BB0_7082 Depth=1
	s_delay_alu instid0(SALU_CYCLE_1)
	s_or_b32 exec_lo, exec_lo, s70
.LBB0_9283:                             ;   in Loop: Header=BB0_7082 Depth=1
	s_delay_alu instid0(SALU_CYCLE_1)
	s_or_b32 exec_lo, exec_lo, s69
.LBB0_9284:                             ;   in Loop: Header=BB0_7082 Depth=1
	s_delay_alu instid0(SALU_CYCLE_1)
	s_or_b32 exec_lo, exec_lo, s68
	v_mov_b32_e32 v0, s62
	s_mov_b32 s68, exec_lo
	ds_load_2addr_b64 v[12:15], v0 offset0:63 offset1:64
	ds_load_b64 v[16:17], v0 offset:520
	s_wait_dscnt 0x1
	v_mul_f64_e32 v[0:1], v[4:5], v[14:15]
	s_delay_alu instid0(VALU_DEP_1) | instskip(SKIP_1) | instid1(VALU_DEP_1)
	v_fmac_f64_e32 v[0:1], v[2:3], v[12:13]
	s_wait_dscnt 0x0
	v_fmac_f64_e32 v[0:1], v[6:7], v[16:17]
	s_delay_alu instid0(VALU_DEP_1)
	v_cmpx_ngt_f64_e32 s[60:61], v[0:1]
	s_xor_b32 s68, exec_lo, s68
	s_cbranch_execz .LBB0_9404
; %bb.9285:                             ;   in Loop: Header=BB0_7082 Depth=1
	s_mov_b32 s69, exec_lo
	v_cmpx_ngt_f64_e32 s[66:67], v[0:1]
	s_xor_b32 s69, exec_lo, s69
	s_cbranch_execz .LBB0_9401
; %bb.9286:                             ;   in Loop: Header=BB0_7082 Depth=1
	s_mov_b32 s70, exec_lo
	;; [unrolled: 5-line block ×30, first 2 shown]
	v_cmpx_gt_f64_e32 s[36:37], v[0:1]
; %bb.9315:                             ;   in Loop: Header=BB0_7082 Depth=1
	v_or_b32_e32 v8, 0x400, v8
; %bb.9316:                             ;   in Loop: Header=BB0_7082 Depth=1
	s_or_b32 exec_lo, exec_lo, s98
.LBB0_9317:                             ;   in Loop: Header=BB0_7082 Depth=1
	s_and_not1_saveexec_b32 s97, s97
; %bb.9318:                             ;   in Loop: Header=BB0_7082 Depth=1
	s_delay_alu instid0(VALU_DEP_1)
	v_or_b32_e32 v8, 0x800, v8
; %bb.9319:                             ;   in Loop: Header=BB0_7082 Depth=1
	s_or_b32 exec_lo, exec_lo, s97
.LBB0_9320:                             ;   in Loop: Header=BB0_7082 Depth=1
	s_and_not1_saveexec_b32 s96, s96
; %bb.9321:                             ;   in Loop: Header=BB0_7082 Depth=1
	s_delay_alu instid0(VALU_DEP_1)
	v_or_b32_e32 v8, 0xc00, v8
; %bb.9322:                             ;   in Loop: Header=BB0_7082 Depth=1
	s_or_b32 exec_lo, exec_lo, s96
.LBB0_9323:                             ;   in Loop: Header=BB0_7082 Depth=1
	s_and_not1_saveexec_b32 s95, s95
; %bb.9324:                             ;   in Loop: Header=BB0_7082 Depth=1
	s_delay_alu instid0(VALU_DEP_1)
	v_or_b32_e32 v8, 0x1000, v8
; %bb.9325:                             ;   in Loop: Header=BB0_7082 Depth=1
	s_or_b32 exec_lo, exec_lo, s95
.LBB0_9326:                             ;   in Loop: Header=BB0_7082 Depth=1
	s_and_not1_saveexec_b32 s94, s94
; %bb.9327:                             ;   in Loop: Header=BB0_7082 Depth=1
	s_delay_alu instid0(VALU_DEP_1)
	v_or_b32_e32 v8, 0x1400, v8
; %bb.9328:                             ;   in Loop: Header=BB0_7082 Depth=1
	s_or_b32 exec_lo, exec_lo, s94
.LBB0_9329:                             ;   in Loop: Header=BB0_7082 Depth=1
	s_and_not1_saveexec_b32 s93, s93
; %bb.9330:                             ;   in Loop: Header=BB0_7082 Depth=1
	s_delay_alu instid0(VALU_DEP_1)
	v_or_b32_e32 v8, 0x1800, v8
; %bb.9331:                             ;   in Loop: Header=BB0_7082 Depth=1
	s_or_b32 exec_lo, exec_lo, s93
.LBB0_9332:                             ;   in Loop: Header=BB0_7082 Depth=1
	s_and_not1_saveexec_b32 s92, s92
; %bb.9333:                             ;   in Loop: Header=BB0_7082 Depth=1
	s_delay_alu instid0(VALU_DEP_1)
	v_or_b32_e32 v8, 0x1c00, v8
; %bb.9334:                             ;   in Loop: Header=BB0_7082 Depth=1
	s_or_b32 exec_lo, exec_lo, s92
.LBB0_9335:                             ;   in Loop: Header=BB0_7082 Depth=1
	s_and_not1_saveexec_b32 s91, s91
; %bb.9336:                             ;   in Loop: Header=BB0_7082 Depth=1
	s_delay_alu instid0(VALU_DEP_1)
	v_or_b32_e32 v8, 0x2000, v8
; %bb.9337:                             ;   in Loop: Header=BB0_7082 Depth=1
	s_or_b32 exec_lo, exec_lo, s91
.LBB0_9338:                             ;   in Loop: Header=BB0_7082 Depth=1
	s_and_not1_saveexec_b32 s90, s90
; %bb.9339:                             ;   in Loop: Header=BB0_7082 Depth=1
	s_delay_alu instid0(VALU_DEP_1)
	v_or_b32_e32 v8, 0x2400, v8
; %bb.9340:                             ;   in Loop: Header=BB0_7082 Depth=1
	s_or_b32 exec_lo, exec_lo, s90
.LBB0_9341:                             ;   in Loop: Header=BB0_7082 Depth=1
	s_and_not1_saveexec_b32 s89, s89
; %bb.9342:                             ;   in Loop: Header=BB0_7082 Depth=1
	s_delay_alu instid0(VALU_DEP_1)
	v_or_b32_e32 v8, 0x2800, v8
; %bb.9343:                             ;   in Loop: Header=BB0_7082 Depth=1
	s_or_b32 exec_lo, exec_lo, s89
.LBB0_9344:                             ;   in Loop: Header=BB0_7082 Depth=1
	s_and_not1_saveexec_b32 s88, s88
; %bb.9345:                             ;   in Loop: Header=BB0_7082 Depth=1
	s_delay_alu instid0(VALU_DEP_1)
	v_or_b32_e32 v8, 0x2c00, v8
; %bb.9346:                             ;   in Loop: Header=BB0_7082 Depth=1
	s_or_b32 exec_lo, exec_lo, s88
.LBB0_9347:                             ;   in Loop: Header=BB0_7082 Depth=1
	s_and_not1_saveexec_b32 s87, s87
; %bb.9348:                             ;   in Loop: Header=BB0_7082 Depth=1
	s_delay_alu instid0(VALU_DEP_1)
	v_or_b32_e32 v8, 0x3000, v8
; %bb.9349:                             ;   in Loop: Header=BB0_7082 Depth=1
	s_or_b32 exec_lo, exec_lo, s87
.LBB0_9350:                             ;   in Loop: Header=BB0_7082 Depth=1
	s_and_not1_saveexec_b32 s86, s86
; %bb.9351:                             ;   in Loop: Header=BB0_7082 Depth=1
	s_delay_alu instid0(VALU_DEP_1)
	v_or_b32_e32 v8, 0x3400, v8
; %bb.9352:                             ;   in Loop: Header=BB0_7082 Depth=1
	s_or_b32 exec_lo, exec_lo, s86
.LBB0_9353:                             ;   in Loop: Header=BB0_7082 Depth=1
	s_and_not1_saveexec_b32 s85, s85
; %bb.9354:                             ;   in Loop: Header=BB0_7082 Depth=1
	s_delay_alu instid0(VALU_DEP_1)
	v_or_b32_e32 v8, 0x3800, v8
; %bb.9355:                             ;   in Loop: Header=BB0_7082 Depth=1
	s_or_b32 exec_lo, exec_lo, s85
.LBB0_9356:                             ;   in Loop: Header=BB0_7082 Depth=1
	s_and_not1_saveexec_b32 s84, s84
; %bb.9357:                             ;   in Loop: Header=BB0_7082 Depth=1
	s_delay_alu instid0(VALU_DEP_1)
	v_or_b32_e32 v8, 0x3c00, v8
; %bb.9358:                             ;   in Loop: Header=BB0_7082 Depth=1
	s_or_b32 exec_lo, exec_lo, s84
.LBB0_9359:                             ;   in Loop: Header=BB0_7082 Depth=1
	s_and_not1_saveexec_b32 s83, s83
; %bb.9360:                             ;   in Loop: Header=BB0_7082 Depth=1
	s_delay_alu instid0(VALU_DEP_1)
	v_or_b32_e32 v8, 0x4000, v8
; %bb.9361:                             ;   in Loop: Header=BB0_7082 Depth=1
	s_or_b32 exec_lo, exec_lo, s83
.LBB0_9362:                             ;   in Loop: Header=BB0_7082 Depth=1
	s_and_not1_saveexec_b32 s82, s82
; %bb.9363:                             ;   in Loop: Header=BB0_7082 Depth=1
	s_delay_alu instid0(VALU_DEP_1)
	v_or_b32_e32 v8, 0x4400, v8
; %bb.9364:                             ;   in Loop: Header=BB0_7082 Depth=1
	s_or_b32 exec_lo, exec_lo, s82
.LBB0_9365:                             ;   in Loop: Header=BB0_7082 Depth=1
	s_and_not1_saveexec_b32 s81, s81
; %bb.9366:                             ;   in Loop: Header=BB0_7082 Depth=1
	s_delay_alu instid0(VALU_DEP_1)
	v_or_b32_e32 v8, 0x4800, v8
; %bb.9367:                             ;   in Loop: Header=BB0_7082 Depth=1
	s_or_b32 exec_lo, exec_lo, s81
.LBB0_9368:                             ;   in Loop: Header=BB0_7082 Depth=1
	s_and_not1_saveexec_b32 s80, s80
; %bb.9369:                             ;   in Loop: Header=BB0_7082 Depth=1
	s_delay_alu instid0(VALU_DEP_1)
	v_or_b32_e32 v8, 0x4c00, v8
; %bb.9370:                             ;   in Loop: Header=BB0_7082 Depth=1
	s_or_b32 exec_lo, exec_lo, s80
.LBB0_9371:                             ;   in Loop: Header=BB0_7082 Depth=1
	s_and_not1_saveexec_b32 s79, s79
; %bb.9372:                             ;   in Loop: Header=BB0_7082 Depth=1
	s_delay_alu instid0(VALU_DEP_1)
	v_or_b32_e32 v8, 0x5000, v8
; %bb.9373:                             ;   in Loop: Header=BB0_7082 Depth=1
	s_or_b32 exec_lo, exec_lo, s79
.LBB0_9374:                             ;   in Loop: Header=BB0_7082 Depth=1
	s_and_not1_saveexec_b32 s78, s78
; %bb.9375:                             ;   in Loop: Header=BB0_7082 Depth=1
	s_delay_alu instid0(VALU_DEP_1)
	v_or_b32_e32 v8, 0x5400, v8
; %bb.9376:                             ;   in Loop: Header=BB0_7082 Depth=1
	s_or_b32 exec_lo, exec_lo, s78
.LBB0_9377:                             ;   in Loop: Header=BB0_7082 Depth=1
	s_and_not1_saveexec_b32 s77, s77
; %bb.9378:                             ;   in Loop: Header=BB0_7082 Depth=1
	s_delay_alu instid0(VALU_DEP_1)
	v_or_b32_e32 v8, 0x5800, v8
; %bb.9379:                             ;   in Loop: Header=BB0_7082 Depth=1
	s_or_b32 exec_lo, exec_lo, s77
.LBB0_9380:                             ;   in Loop: Header=BB0_7082 Depth=1
	s_and_not1_saveexec_b32 s76, s76
; %bb.9381:                             ;   in Loop: Header=BB0_7082 Depth=1
	s_delay_alu instid0(VALU_DEP_1)
	v_or_b32_e32 v8, 0x5c00, v8
; %bb.9382:                             ;   in Loop: Header=BB0_7082 Depth=1
	s_or_b32 exec_lo, exec_lo, s76
.LBB0_9383:                             ;   in Loop: Header=BB0_7082 Depth=1
	s_and_not1_saveexec_b32 s75, s75
; %bb.9384:                             ;   in Loop: Header=BB0_7082 Depth=1
	s_delay_alu instid0(VALU_DEP_1)
	v_or_b32_e32 v8, 0x6000, v8
; %bb.9385:                             ;   in Loop: Header=BB0_7082 Depth=1
	s_or_b32 exec_lo, exec_lo, s75
.LBB0_9386:                             ;   in Loop: Header=BB0_7082 Depth=1
	s_and_not1_saveexec_b32 s74, s74
; %bb.9387:                             ;   in Loop: Header=BB0_7082 Depth=1
	s_delay_alu instid0(VALU_DEP_1)
	v_or_b32_e32 v8, 0x6400, v8
; %bb.9388:                             ;   in Loop: Header=BB0_7082 Depth=1
	s_or_b32 exec_lo, exec_lo, s74
.LBB0_9389:                             ;   in Loop: Header=BB0_7082 Depth=1
	s_and_not1_saveexec_b32 s73, s73
; %bb.9390:                             ;   in Loop: Header=BB0_7082 Depth=1
	s_delay_alu instid0(VALU_DEP_1)
	v_or_b32_e32 v8, 0x6800, v8
; %bb.9391:                             ;   in Loop: Header=BB0_7082 Depth=1
	s_or_b32 exec_lo, exec_lo, s73
.LBB0_9392:                             ;   in Loop: Header=BB0_7082 Depth=1
	s_and_not1_saveexec_b32 s72, s72
; %bb.9393:                             ;   in Loop: Header=BB0_7082 Depth=1
	s_delay_alu instid0(VALU_DEP_1)
	v_or_b32_e32 v8, 0x6c00, v8
; %bb.9394:                             ;   in Loop: Header=BB0_7082 Depth=1
	s_or_b32 exec_lo, exec_lo, s72
.LBB0_9395:                             ;   in Loop: Header=BB0_7082 Depth=1
	s_and_not1_saveexec_b32 s71, s71
; %bb.9396:                             ;   in Loop: Header=BB0_7082 Depth=1
	s_delay_alu instid0(VALU_DEP_1)
	v_or_b32_e32 v8, 0x7000, v8
; %bb.9397:                             ;   in Loop: Header=BB0_7082 Depth=1
	s_or_b32 exec_lo, exec_lo, s71
.LBB0_9398:                             ;   in Loop: Header=BB0_7082 Depth=1
	s_and_not1_saveexec_b32 s70, s70
; %bb.9399:                             ;   in Loop: Header=BB0_7082 Depth=1
	s_delay_alu instid0(VALU_DEP_1)
	v_or_b32_e32 v8, 0x7400, v8
; %bb.9400:                             ;   in Loop: Header=BB0_7082 Depth=1
	s_or_b32 exec_lo, exec_lo, s70
.LBB0_9401:                             ;   in Loop: Header=BB0_7082 Depth=1
	s_and_not1_saveexec_b32 s69, s69
; %bb.9402:                             ;   in Loop: Header=BB0_7082 Depth=1
	s_delay_alu instid0(VALU_DEP_1)
	v_or_b32_e32 v8, 0x7800, v8
; %bb.9403:                             ;   in Loop: Header=BB0_7082 Depth=1
	s_or_b32 exec_lo, exec_lo, s69
.LBB0_9404:                             ;   in Loop: Header=BB0_7082 Depth=1
	s_and_not1_saveexec_b32 s68, s68
; %bb.9405:                             ;   in Loop: Header=BB0_7082 Depth=1
	s_delay_alu instid0(VALU_DEP_1)
	v_or_b32_e32 v8, 0x7c00, v8
; %bb.9406:                             ;   in Loop: Header=BB0_7082 Depth=1
	s_or_b32 exec_lo, exec_lo, s68
	v_mov_b32_e32 v0, s62
	s_mov_b32 s68, exec_lo
	ds_load_2addr_b64 v[12:15], v0 offset0:66 offset1:67
	ds_load_b64 v[16:17], v0 offset:544
	s_wait_dscnt 0x1
	v_mul_f64_e32 v[0:1], v[4:5], v[14:15]
	s_delay_alu instid0(VALU_DEP_1) | instskip(SKIP_1) | instid1(VALU_DEP_1)
	v_fmac_f64_e32 v[0:1], v[2:3], v[12:13]
	s_wait_dscnt 0x0
	v_fmac_f64_e32 v[0:1], v[6:7], v[16:17]
	s_delay_alu instid0(VALU_DEP_1)
	v_cmpx_ngt_f64_e32 s[60:61], v[0:1]
	s_xor_b32 s68, exec_lo, s68
	s_cbranch_execz .LBB0_9526
; %bb.9407:                             ;   in Loop: Header=BB0_7082 Depth=1
	s_mov_b32 s69, exec_lo
	v_cmpx_ngt_f64_e32 s[66:67], v[0:1]
	s_xor_b32 s69, exec_lo, s69
	s_cbranch_execz .LBB0_9523
; %bb.9408:                             ;   in Loop: Header=BB0_7082 Depth=1
	s_mov_b32 s70, exec_lo
	v_cmpx_ngt_f64_e32 s[64:65], v[0:1]
	s_xor_b32 s70, exec_lo, s70
	s_cbranch_execz .LBB0_9520
; %bb.9409:                             ;   in Loop: Header=BB0_7082 Depth=1
	s_mov_b32 s71, exec_lo
	v_cmpx_ngt_f64_e32 s[58:59], v[0:1]
	s_xor_b32 s71, exec_lo, s71
	s_cbranch_execz .LBB0_9517
; %bb.9410:                             ;   in Loop: Header=BB0_7082 Depth=1
	s_mov_b32 s72, exec_lo
	v_cmpx_ngt_f64_e32 s[56:57], v[0:1]
	s_xor_b32 s72, exec_lo, s72
	s_cbranch_execz .LBB0_9514
; %bb.9411:                             ;   in Loop: Header=BB0_7082 Depth=1
	s_mov_b32 s73, exec_lo
	v_cmpx_ngt_f64_e32 s[54:55], v[0:1]
	s_xor_b32 s73, exec_lo, s73
	s_cbranch_execz .LBB0_9511
; %bb.9412:                             ;   in Loop: Header=BB0_7082 Depth=1
	s_mov_b32 s74, exec_lo
	v_cmpx_ngt_f64_e32 s[52:53], v[0:1]
	s_xor_b32 s74, exec_lo, s74
	s_cbranch_execz .LBB0_9508
; %bb.9413:                             ;   in Loop: Header=BB0_7082 Depth=1
	s_mov_b32 s75, exec_lo
	v_cmpx_ngt_f64_e32 s[14:15], v[0:1]
	s_xor_b32 s75, exec_lo, s75
	s_cbranch_execz .LBB0_9505
; %bb.9414:                             ;   in Loop: Header=BB0_7082 Depth=1
	s_mov_b32 s76, exec_lo
	v_cmpx_ngt_f64_e32 s[12:13], v[0:1]
	s_xor_b32 s76, exec_lo, s76
	s_cbranch_execz .LBB0_9502
; %bb.9415:                             ;   in Loop: Header=BB0_7082 Depth=1
	s_mov_b32 s77, exec_lo
	v_cmpx_ngt_f64_e32 s[10:11], v[0:1]
	s_xor_b32 s77, exec_lo, s77
	s_cbranch_execz .LBB0_9499
; %bb.9416:                             ;   in Loop: Header=BB0_7082 Depth=1
	s_mov_b32 s78, exec_lo
	v_cmpx_ngt_f64_e32 s[8:9], v[0:1]
	s_xor_b32 s78, exec_lo, s78
	s_cbranch_execz .LBB0_9496
; %bb.9417:                             ;   in Loop: Header=BB0_7082 Depth=1
	s_mov_b32 s79, exec_lo
	v_cmpx_ngt_f64_e32 s[6:7], v[0:1]
	s_xor_b32 s79, exec_lo, s79
	s_cbranch_execz .LBB0_9493
; %bb.9418:                             ;   in Loop: Header=BB0_7082 Depth=1
	s_mov_b32 s80, exec_lo
	v_cmpx_ngt_f64_e32 s[4:5], v[0:1]
	s_xor_b32 s80, exec_lo, s80
	s_cbranch_execz .LBB0_9490
; %bb.9419:                             ;   in Loop: Header=BB0_7082 Depth=1
	s_mov_b32 s81, exec_lo
	v_cmpx_ngt_f64_e32 s[2:3], v[0:1]
	s_xor_b32 s81, exec_lo, s81
	s_cbranch_execz .LBB0_9487
; %bb.9420:                             ;   in Loop: Header=BB0_7082 Depth=1
	s_mov_b32 s82, exec_lo
	v_cmpx_ngt_f64_e32 s[0:1], v[0:1]
	s_xor_b32 s82, exec_lo, s82
	s_cbranch_execz .LBB0_9484
; %bb.9421:                             ;   in Loop: Header=BB0_7082 Depth=1
	s_mov_b32 s83, exec_lo
	v_cmpx_ngt_f64_e32 s[30:31], v[0:1]
	s_xor_b32 s83, exec_lo, s83
	s_cbranch_execz .LBB0_9481
; %bb.9422:                             ;   in Loop: Header=BB0_7082 Depth=1
	s_mov_b32 s84, exec_lo
	v_cmpx_ngt_f64_e32 s[28:29], v[0:1]
	s_xor_b32 s84, exec_lo, s84
	s_cbranch_execz .LBB0_9478
; %bb.9423:                             ;   in Loop: Header=BB0_7082 Depth=1
	s_mov_b32 s85, exec_lo
	v_cmpx_ngt_f64_e32 s[26:27], v[0:1]
	s_xor_b32 s85, exec_lo, s85
	s_cbranch_execz .LBB0_9475
; %bb.9424:                             ;   in Loop: Header=BB0_7082 Depth=1
	s_mov_b32 s86, exec_lo
	v_cmpx_ngt_f64_e32 s[24:25], v[0:1]
	s_xor_b32 s86, exec_lo, s86
	s_cbranch_execz .LBB0_9472
; %bb.9425:                             ;   in Loop: Header=BB0_7082 Depth=1
	s_mov_b32 s87, exec_lo
	v_cmpx_ngt_f64_e32 s[22:23], v[0:1]
	s_xor_b32 s87, exec_lo, s87
	s_cbranch_execz .LBB0_9469
; %bb.9426:                             ;   in Loop: Header=BB0_7082 Depth=1
	s_mov_b32 s88, exec_lo
	v_cmpx_ngt_f64_e32 s[20:21], v[0:1]
	s_xor_b32 s88, exec_lo, s88
	s_cbranch_execz .LBB0_9466
; %bb.9427:                             ;   in Loop: Header=BB0_7082 Depth=1
	s_mov_b32 s89, exec_lo
	v_cmpx_ngt_f64_e32 s[18:19], v[0:1]
	s_xor_b32 s89, exec_lo, s89
	s_cbranch_execz .LBB0_9463
; %bb.9428:                             ;   in Loop: Header=BB0_7082 Depth=1
	s_mov_b32 s90, exec_lo
	v_cmpx_ngt_f64_e32 s[16:17], v[0:1]
	s_xor_b32 s90, exec_lo, s90
	s_cbranch_execz .LBB0_9460
; %bb.9429:                             ;   in Loop: Header=BB0_7082 Depth=1
	s_mov_b32 s91, exec_lo
	v_cmpx_ngt_f64_e32 s[50:51], v[0:1]
	s_xor_b32 s91, exec_lo, s91
	s_cbranch_execz .LBB0_9457
; %bb.9430:                             ;   in Loop: Header=BB0_7082 Depth=1
	s_mov_b32 s92, exec_lo
	v_cmpx_ngt_f64_e32 s[48:49], v[0:1]
	s_xor_b32 s92, exec_lo, s92
	s_cbranch_execz .LBB0_9454
; %bb.9431:                             ;   in Loop: Header=BB0_7082 Depth=1
	s_mov_b32 s93, exec_lo
	v_cmpx_ngt_f64_e32 s[46:47], v[0:1]
	s_xor_b32 s93, exec_lo, s93
	s_cbranch_execz .LBB0_9451
; %bb.9432:                             ;   in Loop: Header=BB0_7082 Depth=1
	s_mov_b32 s94, exec_lo
	v_cmpx_ngt_f64_e32 s[44:45], v[0:1]
	s_xor_b32 s94, exec_lo, s94
	s_cbranch_execz .LBB0_9448
; %bb.9433:                             ;   in Loop: Header=BB0_7082 Depth=1
	s_mov_b32 s95, exec_lo
	v_cmpx_ngt_f64_e32 s[42:43], v[0:1]
	s_xor_b32 s95, exec_lo, s95
	s_cbranch_execz .LBB0_9445
; %bb.9434:                             ;   in Loop: Header=BB0_7082 Depth=1
	s_mov_b32 s96, exec_lo
	v_cmpx_ngt_f64_e32 s[40:41], v[0:1]
	s_xor_b32 s96, exec_lo, s96
	s_cbranch_execz .LBB0_9442
; %bb.9435:                             ;   in Loop: Header=BB0_7082 Depth=1
	s_mov_b32 s97, exec_lo
	v_cmpx_ngt_f64_e32 s[38:39], v[0:1]
	s_xor_b32 s97, exec_lo, s97
	s_cbranch_execz .LBB0_9439
; %bb.9436:                             ;   in Loop: Header=BB0_7082 Depth=1
	s_mov_b32 s98, exec_lo
	v_cmpx_gt_f64_e32 s[36:37], v[0:1]
; %bb.9437:                             ;   in Loop: Header=BB0_7082 Depth=1
	v_add_nc_u32_e32 v8, 0x40000, v8
; %bb.9438:                             ;   in Loop: Header=BB0_7082 Depth=1
	s_or_b32 exec_lo, exec_lo, s98
.LBB0_9439:                             ;   in Loop: Header=BB0_7082 Depth=1
	s_and_not1_saveexec_b32 s97, s97
; %bb.9440:                             ;   in Loop: Header=BB0_7082 Depth=1
	s_delay_alu instid0(VALU_DEP_1)
	v_add_nc_u32_e32 v8, 0x80000, v8
; %bb.9441:                             ;   in Loop: Header=BB0_7082 Depth=1
	s_or_b32 exec_lo, exec_lo, s97
.LBB0_9442:                             ;   in Loop: Header=BB0_7082 Depth=1
	s_and_not1_saveexec_b32 s96, s96
; %bb.9443:                             ;   in Loop: Header=BB0_7082 Depth=1
	s_delay_alu instid0(VALU_DEP_1)
	v_add_nc_u32_e32 v8, 0xc0000, v8
; %bb.9444:                             ;   in Loop: Header=BB0_7082 Depth=1
	s_or_b32 exec_lo, exec_lo, s96
.LBB0_9445:                             ;   in Loop: Header=BB0_7082 Depth=1
	s_and_not1_saveexec_b32 s95, s95
; %bb.9446:                             ;   in Loop: Header=BB0_7082 Depth=1
	s_delay_alu instid0(VALU_DEP_1)
	v_add_nc_u32_e32 v8, 0x100000, v8
; %bb.9447:                             ;   in Loop: Header=BB0_7082 Depth=1
	s_or_b32 exec_lo, exec_lo, s95
.LBB0_9448:                             ;   in Loop: Header=BB0_7082 Depth=1
	s_and_not1_saveexec_b32 s94, s94
; %bb.9449:                             ;   in Loop: Header=BB0_7082 Depth=1
	s_delay_alu instid0(VALU_DEP_1)
	v_add_nc_u32_e32 v8, 0x140000, v8
; %bb.9450:                             ;   in Loop: Header=BB0_7082 Depth=1
	s_or_b32 exec_lo, exec_lo, s94
.LBB0_9451:                             ;   in Loop: Header=BB0_7082 Depth=1
	s_and_not1_saveexec_b32 s93, s93
; %bb.9452:                             ;   in Loop: Header=BB0_7082 Depth=1
	s_delay_alu instid0(VALU_DEP_1)
	v_add_nc_u32_e32 v8, 0x180000, v8
; %bb.9453:                             ;   in Loop: Header=BB0_7082 Depth=1
	s_or_b32 exec_lo, exec_lo, s93
.LBB0_9454:                             ;   in Loop: Header=BB0_7082 Depth=1
	s_and_not1_saveexec_b32 s92, s92
; %bb.9455:                             ;   in Loop: Header=BB0_7082 Depth=1
	s_delay_alu instid0(VALU_DEP_1)
	v_add_nc_u32_e32 v8, 0x1c0000, v8
; %bb.9456:                             ;   in Loop: Header=BB0_7082 Depth=1
	s_or_b32 exec_lo, exec_lo, s92
.LBB0_9457:                             ;   in Loop: Header=BB0_7082 Depth=1
	s_and_not1_saveexec_b32 s91, s91
; %bb.9458:                             ;   in Loop: Header=BB0_7082 Depth=1
	s_delay_alu instid0(VALU_DEP_1)
	v_add_nc_u32_e32 v8, 0x200000, v8
; %bb.9459:                             ;   in Loop: Header=BB0_7082 Depth=1
	s_or_b32 exec_lo, exec_lo, s91
.LBB0_9460:                             ;   in Loop: Header=BB0_7082 Depth=1
	s_and_not1_saveexec_b32 s90, s90
; %bb.9461:                             ;   in Loop: Header=BB0_7082 Depth=1
	s_delay_alu instid0(VALU_DEP_1)
	v_add_nc_u32_e32 v8, 0x240000, v8
; %bb.9462:                             ;   in Loop: Header=BB0_7082 Depth=1
	s_or_b32 exec_lo, exec_lo, s90
.LBB0_9463:                             ;   in Loop: Header=BB0_7082 Depth=1
	s_and_not1_saveexec_b32 s89, s89
; %bb.9464:                             ;   in Loop: Header=BB0_7082 Depth=1
	s_delay_alu instid0(VALU_DEP_1)
	v_add_nc_u32_e32 v8, 0x280000, v8
; %bb.9465:                             ;   in Loop: Header=BB0_7082 Depth=1
	s_or_b32 exec_lo, exec_lo, s89
.LBB0_9466:                             ;   in Loop: Header=BB0_7082 Depth=1
	s_and_not1_saveexec_b32 s88, s88
; %bb.9467:                             ;   in Loop: Header=BB0_7082 Depth=1
	s_delay_alu instid0(VALU_DEP_1)
	v_add_nc_u32_e32 v8, 0x2c0000, v8
; %bb.9468:                             ;   in Loop: Header=BB0_7082 Depth=1
	s_or_b32 exec_lo, exec_lo, s88
.LBB0_9469:                             ;   in Loop: Header=BB0_7082 Depth=1
	s_and_not1_saveexec_b32 s87, s87
; %bb.9470:                             ;   in Loop: Header=BB0_7082 Depth=1
	s_delay_alu instid0(VALU_DEP_1)
	v_add_nc_u32_e32 v8, 0x300000, v8
; %bb.9471:                             ;   in Loop: Header=BB0_7082 Depth=1
	s_or_b32 exec_lo, exec_lo, s87
.LBB0_9472:                             ;   in Loop: Header=BB0_7082 Depth=1
	s_and_not1_saveexec_b32 s86, s86
; %bb.9473:                             ;   in Loop: Header=BB0_7082 Depth=1
	s_delay_alu instid0(VALU_DEP_1)
	v_add_nc_u32_e32 v8, 0x340000, v8
; %bb.9474:                             ;   in Loop: Header=BB0_7082 Depth=1
	s_or_b32 exec_lo, exec_lo, s86
.LBB0_9475:                             ;   in Loop: Header=BB0_7082 Depth=1
	s_and_not1_saveexec_b32 s85, s85
; %bb.9476:                             ;   in Loop: Header=BB0_7082 Depth=1
	s_delay_alu instid0(VALU_DEP_1)
	v_add_nc_u32_e32 v8, 0x380000, v8
; %bb.9477:                             ;   in Loop: Header=BB0_7082 Depth=1
	s_or_b32 exec_lo, exec_lo, s85
.LBB0_9478:                             ;   in Loop: Header=BB0_7082 Depth=1
	s_and_not1_saveexec_b32 s84, s84
; %bb.9479:                             ;   in Loop: Header=BB0_7082 Depth=1
	s_delay_alu instid0(VALU_DEP_1)
	v_add_nc_u32_e32 v8, 0x3c0000, v8
; %bb.9480:                             ;   in Loop: Header=BB0_7082 Depth=1
	s_or_b32 exec_lo, exec_lo, s84
.LBB0_9481:                             ;   in Loop: Header=BB0_7082 Depth=1
	s_and_not1_saveexec_b32 s83, s83
; %bb.9482:                             ;   in Loop: Header=BB0_7082 Depth=1
	s_delay_alu instid0(VALU_DEP_1)
	v_add_nc_u32_e32 v8, 0x400000, v8
; %bb.9483:                             ;   in Loop: Header=BB0_7082 Depth=1
	s_or_b32 exec_lo, exec_lo, s83
.LBB0_9484:                             ;   in Loop: Header=BB0_7082 Depth=1
	s_and_not1_saveexec_b32 s82, s82
; %bb.9485:                             ;   in Loop: Header=BB0_7082 Depth=1
	s_delay_alu instid0(VALU_DEP_1)
	v_add_nc_u32_e32 v8, 0x440000, v8
; %bb.9486:                             ;   in Loop: Header=BB0_7082 Depth=1
	s_or_b32 exec_lo, exec_lo, s82
.LBB0_9487:                             ;   in Loop: Header=BB0_7082 Depth=1
	s_and_not1_saveexec_b32 s81, s81
; %bb.9488:                             ;   in Loop: Header=BB0_7082 Depth=1
	s_delay_alu instid0(VALU_DEP_1)
	v_add_nc_u32_e32 v8, 0x480000, v8
; %bb.9489:                             ;   in Loop: Header=BB0_7082 Depth=1
	s_or_b32 exec_lo, exec_lo, s81
.LBB0_9490:                             ;   in Loop: Header=BB0_7082 Depth=1
	s_and_not1_saveexec_b32 s80, s80
; %bb.9491:                             ;   in Loop: Header=BB0_7082 Depth=1
	s_delay_alu instid0(VALU_DEP_1)
	v_add_nc_u32_e32 v8, 0x4c0000, v8
; %bb.9492:                             ;   in Loop: Header=BB0_7082 Depth=1
	s_or_b32 exec_lo, exec_lo, s80
.LBB0_9493:                             ;   in Loop: Header=BB0_7082 Depth=1
	s_and_not1_saveexec_b32 s79, s79
; %bb.9494:                             ;   in Loop: Header=BB0_7082 Depth=1
	s_delay_alu instid0(VALU_DEP_1)
	v_add_nc_u32_e32 v8, 0x500000, v8
; %bb.9495:                             ;   in Loop: Header=BB0_7082 Depth=1
	s_or_b32 exec_lo, exec_lo, s79
.LBB0_9496:                             ;   in Loop: Header=BB0_7082 Depth=1
	s_and_not1_saveexec_b32 s78, s78
; %bb.9497:                             ;   in Loop: Header=BB0_7082 Depth=1
	s_delay_alu instid0(VALU_DEP_1)
	v_add_nc_u32_e32 v8, 0x540000, v8
; %bb.9498:                             ;   in Loop: Header=BB0_7082 Depth=1
	s_or_b32 exec_lo, exec_lo, s78
.LBB0_9499:                             ;   in Loop: Header=BB0_7082 Depth=1
	s_and_not1_saveexec_b32 s77, s77
; %bb.9500:                             ;   in Loop: Header=BB0_7082 Depth=1
	s_delay_alu instid0(VALU_DEP_1)
	v_add_nc_u32_e32 v8, 0x580000, v8
; %bb.9501:                             ;   in Loop: Header=BB0_7082 Depth=1
	s_or_b32 exec_lo, exec_lo, s77
.LBB0_9502:                             ;   in Loop: Header=BB0_7082 Depth=1
	s_and_not1_saveexec_b32 s76, s76
; %bb.9503:                             ;   in Loop: Header=BB0_7082 Depth=1
	s_delay_alu instid0(VALU_DEP_1)
	v_add_nc_u32_e32 v8, 0x5c0000, v8
; %bb.9504:                             ;   in Loop: Header=BB0_7082 Depth=1
	s_or_b32 exec_lo, exec_lo, s76
.LBB0_9505:                             ;   in Loop: Header=BB0_7082 Depth=1
	s_and_not1_saveexec_b32 s75, s75
; %bb.9506:                             ;   in Loop: Header=BB0_7082 Depth=1
	s_delay_alu instid0(VALU_DEP_1)
	v_add_nc_u32_e32 v8, 0x600000, v8
; %bb.9507:                             ;   in Loop: Header=BB0_7082 Depth=1
	s_or_b32 exec_lo, exec_lo, s75
.LBB0_9508:                             ;   in Loop: Header=BB0_7082 Depth=1
	s_and_not1_saveexec_b32 s74, s74
; %bb.9509:                             ;   in Loop: Header=BB0_7082 Depth=1
	s_delay_alu instid0(VALU_DEP_1)
	v_add_nc_u32_e32 v8, 0x640000, v8
; %bb.9510:                             ;   in Loop: Header=BB0_7082 Depth=1
	s_or_b32 exec_lo, exec_lo, s74
.LBB0_9511:                             ;   in Loop: Header=BB0_7082 Depth=1
	s_and_not1_saveexec_b32 s73, s73
; %bb.9512:                             ;   in Loop: Header=BB0_7082 Depth=1
	s_delay_alu instid0(VALU_DEP_1)
	v_add_nc_u32_e32 v8, 0x680000, v8
; %bb.9513:                             ;   in Loop: Header=BB0_7082 Depth=1
	s_or_b32 exec_lo, exec_lo, s73
.LBB0_9514:                             ;   in Loop: Header=BB0_7082 Depth=1
	s_and_not1_saveexec_b32 s72, s72
; %bb.9515:                             ;   in Loop: Header=BB0_7082 Depth=1
	s_delay_alu instid0(VALU_DEP_1)
	v_add_nc_u32_e32 v8, 0x6c0000, v8
; %bb.9516:                             ;   in Loop: Header=BB0_7082 Depth=1
	s_or_b32 exec_lo, exec_lo, s72
.LBB0_9517:                             ;   in Loop: Header=BB0_7082 Depth=1
	s_and_not1_saveexec_b32 s71, s71
; %bb.9518:                             ;   in Loop: Header=BB0_7082 Depth=1
	s_delay_alu instid0(VALU_DEP_1)
	v_add_nc_u32_e32 v8, 0x700000, v8
; %bb.9519:                             ;   in Loop: Header=BB0_7082 Depth=1
	s_or_b32 exec_lo, exec_lo, s71
.LBB0_9520:                             ;   in Loop: Header=BB0_7082 Depth=1
	s_and_not1_saveexec_b32 s70, s70
; %bb.9521:                             ;   in Loop: Header=BB0_7082 Depth=1
	s_delay_alu instid0(VALU_DEP_1)
	v_add_nc_u32_e32 v8, 0x740000, v8
; %bb.9522:                             ;   in Loop: Header=BB0_7082 Depth=1
	s_or_b32 exec_lo, exec_lo, s70
.LBB0_9523:                             ;   in Loop: Header=BB0_7082 Depth=1
	s_and_not1_saveexec_b32 s69, s69
; %bb.9524:                             ;   in Loop: Header=BB0_7082 Depth=1
	s_delay_alu instid0(VALU_DEP_1)
	v_add_nc_u32_e32 v8, 0x780000, v8
; %bb.9525:                             ;   in Loop: Header=BB0_7082 Depth=1
	s_or_b32 exec_lo, exec_lo, s69
.LBB0_9526:                             ;   in Loop: Header=BB0_7082 Depth=1
	s_and_not1_saveexec_b32 s68, s68
; %bb.9527:                             ;   in Loop: Header=BB0_7082 Depth=1
	s_delay_alu instid0(VALU_DEP_1)
	v_add_nc_u32_e32 v8, 0x7c0000, v8
; %bb.9528:                             ;   in Loop: Header=BB0_7082 Depth=1
	s_or_b32 exec_lo, exec_lo, s68
	v_mov_b32_e32 v0, s62
	s_mov_b32 s68, exec_lo
	ds_load_2addr_b64 v[12:15], v0 offset0:69 offset1:70
	ds_load_b64 v[16:17], v0 offset:568
	s_wait_dscnt 0x1
	v_mul_f64_e32 v[0:1], v[4:5], v[14:15]
	s_delay_alu instid0(VALU_DEP_1) | instskip(SKIP_1) | instid1(VALU_DEP_1)
	v_fmac_f64_e32 v[0:1], v[2:3], v[12:13]
	s_wait_dscnt 0x0
	v_fmac_f64_e32 v[0:1], v[6:7], v[16:17]
	s_delay_alu instid0(VALU_DEP_1)
	v_cmpx_ngt_f64_e32 s[60:61], v[0:1]
	s_xor_b32 s68, exec_lo, s68
	s_cbranch_execz .LBB0_9648
; %bb.9529:                             ;   in Loop: Header=BB0_7082 Depth=1
	s_mov_b32 s69, exec_lo
	v_cmpx_ngt_f64_e32 s[66:67], v[0:1]
	s_xor_b32 s69, exec_lo, s69
	s_cbranch_execz .LBB0_9645
; %bb.9530:                             ;   in Loop: Header=BB0_7082 Depth=1
	s_mov_b32 s70, exec_lo
	;; [unrolled: 5-line block ×30, first 2 shown]
	v_cmpx_gt_f64_e32 s[36:37], v[0:1]
; %bb.9559:                             ;   in Loop: Header=BB0_7082 Depth=1
	v_add_nc_u32_e32 v8, 0x4000000, v8
; %bb.9560:                             ;   in Loop: Header=BB0_7082 Depth=1
	s_or_b32 exec_lo, exec_lo, s98
.LBB0_9561:                             ;   in Loop: Header=BB0_7082 Depth=1
	s_and_not1_saveexec_b32 s97, s97
; %bb.9562:                             ;   in Loop: Header=BB0_7082 Depth=1
	s_delay_alu instid0(VALU_DEP_1)
	v_add_nc_u32_e32 v8, 0x8000000, v8
; %bb.9563:                             ;   in Loop: Header=BB0_7082 Depth=1
	s_or_b32 exec_lo, exec_lo, s97
.LBB0_9564:                             ;   in Loop: Header=BB0_7082 Depth=1
	s_and_not1_saveexec_b32 s96, s96
; %bb.9565:                             ;   in Loop: Header=BB0_7082 Depth=1
	s_delay_alu instid0(VALU_DEP_1)
	v_add_nc_u32_e32 v8, 0xc000000, v8
; %bb.9566:                             ;   in Loop: Header=BB0_7082 Depth=1
	s_or_b32 exec_lo, exec_lo, s96
.LBB0_9567:                             ;   in Loop: Header=BB0_7082 Depth=1
	s_and_not1_saveexec_b32 s95, s95
; %bb.9568:                             ;   in Loop: Header=BB0_7082 Depth=1
	s_delay_alu instid0(VALU_DEP_1)
	v_add_nc_u32_e32 v8, 0x10000000, v8
; %bb.9569:                             ;   in Loop: Header=BB0_7082 Depth=1
	s_or_b32 exec_lo, exec_lo, s95
.LBB0_9570:                             ;   in Loop: Header=BB0_7082 Depth=1
	s_and_not1_saveexec_b32 s94, s94
; %bb.9571:                             ;   in Loop: Header=BB0_7082 Depth=1
	s_delay_alu instid0(VALU_DEP_1)
	v_add_nc_u32_e32 v8, 0x14000000, v8
; %bb.9572:                             ;   in Loop: Header=BB0_7082 Depth=1
	s_or_b32 exec_lo, exec_lo, s94
.LBB0_9573:                             ;   in Loop: Header=BB0_7082 Depth=1
	s_and_not1_saveexec_b32 s93, s93
; %bb.9574:                             ;   in Loop: Header=BB0_7082 Depth=1
	s_delay_alu instid0(VALU_DEP_1)
	v_add_nc_u32_e32 v8, 0x18000000, v8
; %bb.9575:                             ;   in Loop: Header=BB0_7082 Depth=1
	s_or_b32 exec_lo, exec_lo, s93
.LBB0_9576:                             ;   in Loop: Header=BB0_7082 Depth=1
	s_and_not1_saveexec_b32 s92, s92
; %bb.9577:                             ;   in Loop: Header=BB0_7082 Depth=1
	s_delay_alu instid0(VALU_DEP_1)
	v_add_nc_u32_e32 v8, 0x1c000000, v8
; %bb.9578:                             ;   in Loop: Header=BB0_7082 Depth=1
	s_or_b32 exec_lo, exec_lo, s92
.LBB0_9579:                             ;   in Loop: Header=BB0_7082 Depth=1
	s_and_not1_saveexec_b32 s91, s91
; %bb.9580:                             ;   in Loop: Header=BB0_7082 Depth=1
	s_delay_alu instid0(VALU_DEP_1)
	v_add_nc_u32_e32 v8, 0x20000000, v8
; %bb.9581:                             ;   in Loop: Header=BB0_7082 Depth=1
	s_or_b32 exec_lo, exec_lo, s91
.LBB0_9582:                             ;   in Loop: Header=BB0_7082 Depth=1
	s_and_not1_saveexec_b32 s90, s90
; %bb.9583:                             ;   in Loop: Header=BB0_7082 Depth=1
	s_delay_alu instid0(VALU_DEP_1)
	v_add_nc_u32_e32 v8, 0x24000000, v8
; %bb.9584:                             ;   in Loop: Header=BB0_7082 Depth=1
	s_or_b32 exec_lo, exec_lo, s90
.LBB0_9585:                             ;   in Loop: Header=BB0_7082 Depth=1
	s_and_not1_saveexec_b32 s89, s89
; %bb.9586:                             ;   in Loop: Header=BB0_7082 Depth=1
	s_delay_alu instid0(VALU_DEP_1)
	v_add_nc_u32_e32 v8, 0x28000000, v8
; %bb.9587:                             ;   in Loop: Header=BB0_7082 Depth=1
	s_or_b32 exec_lo, exec_lo, s89
.LBB0_9588:                             ;   in Loop: Header=BB0_7082 Depth=1
	s_and_not1_saveexec_b32 s88, s88
; %bb.9589:                             ;   in Loop: Header=BB0_7082 Depth=1
	s_delay_alu instid0(VALU_DEP_1)
	v_add_nc_u32_e32 v8, 0x2c000000, v8
; %bb.9590:                             ;   in Loop: Header=BB0_7082 Depth=1
	s_or_b32 exec_lo, exec_lo, s88
.LBB0_9591:                             ;   in Loop: Header=BB0_7082 Depth=1
	s_and_not1_saveexec_b32 s87, s87
; %bb.9592:                             ;   in Loop: Header=BB0_7082 Depth=1
	s_delay_alu instid0(VALU_DEP_1)
	v_add_nc_u32_e32 v8, 0x30000000, v8
; %bb.9593:                             ;   in Loop: Header=BB0_7082 Depth=1
	s_or_b32 exec_lo, exec_lo, s87
.LBB0_9594:                             ;   in Loop: Header=BB0_7082 Depth=1
	s_and_not1_saveexec_b32 s86, s86
; %bb.9595:                             ;   in Loop: Header=BB0_7082 Depth=1
	s_delay_alu instid0(VALU_DEP_1)
	v_add_nc_u32_e32 v8, 0x34000000, v8
; %bb.9596:                             ;   in Loop: Header=BB0_7082 Depth=1
	s_or_b32 exec_lo, exec_lo, s86
.LBB0_9597:                             ;   in Loop: Header=BB0_7082 Depth=1
	s_and_not1_saveexec_b32 s85, s85
; %bb.9598:                             ;   in Loop: Header=BB0_7082 Depth=1
	s_delay_alu instid0(VALU_DEP_1)
	v_add_nc_u32_e32 v8, 0x38000000, v8
; %bb.9599:                             ;   in Loop: Header=BB0_7082 Depth=1
	s_or_b32 exec_lo, exec_lo, s85
.LBB0_9600:                             ;   in Loop: Header=BB0_7082 Depth=1
	s_and_not1_saveexec_b32 s84, s84
; %bb.9601:                             ;   in Loop: Header=BB0_7082 Depth=1
	s_delay_alu instid0(VALU_DEP_1)
	v_add_nc_u32_e32 v8, 0x3c000000, v8
; %bb.9602:                             ;   in Loop: Header=BB0_7082 Depth=1
	s_or_b32 exec_lo, exec_lo, s84
.LBB0_9603:                             ;   in Loop: Header=BB0_7082 Depth=1
	s_and_not1_saveexec_b32 s83, s83
; %bb.9604:                             ;   in Loop: Header=BB0_7082 Depth=1
	s_delay_alu instid0(VALU_DEP_1)
	v_add_nc_u32_e32 v8, 2.0, v8
; %bb.9605:                             ;   in Loop: Header=BB0_7082 Depth=1
	s_or_b32 exec_lo, exec_lo, s83
.LBB0_9606:                             ;   in Loop: Header=BB0_7082 Depth=1
	s_and_not1_saveexec_b32 s82, s82
; %bb.9607:                             ;   in Loop: Header=BB0_7082 Depth=1
	s_delay_alu instid0(VALU_DEP_1)
	v_add_nc_u32_e32 v8, 0x44000000, v8
; %bb.9608:                             ;   in Loop: Header=BB0_7082 Depth=1
	s_or_b32 exec_lo, exec_lo, s82
.LBB0_9609:                             ;   in Loop: Header=BB0_7082 Depth=1
	s_and_not1_saveexec_b32 s81, s81
; %bb.9610:                             ;   in Loop: Header=BB0_7082 Depth=1
	s_delay_alu instid0(VALU_DEP_1)
	v_add_nc_u32_e32 v8, 0x48000000, v8
; %bb.9611:                             ;   in Loop: Header=BB0_7082 Depth=1
	s_or_b32 exec_lo, exec_lo, s81
.LBB0_9612:                             ;   in Loop: Header=BB0_7082 Depth=1
	s_and_not1_saveexec_b32 s80, s80
; %bb.9613:                             ;   in Loop: Header=BB0_7082 Depth=1
	s_delay_alu instid0(VALU_DEP_1)
	v_add_nc_u32_e32 v8, 0x4c000000, v8
; %bb.9614:                             ;   in Loop: Header=BB0_7082 Depth=1
	s_or_b32 exec_lo, exec_lo, s80
.LBB0_9615:                             ;   in Loop: Header=BB0_7082 Depth=1
	s_and_not1_saveexec_b32 s79, s79
; %bb.9616:                             ;   in Loop: Header=BB0_7082 Depth=1
	s_delay_alu instid0(VALU_DEP_1)
	v_add_nc_u32_e32 v8, 0x50000000, v8
; %bb.9617:                             ;   in Loop: Header=BB0_7082 Depth=1
	s_or_b32 exec_lo, exec_lo, s79
.LBB0_9618:                             ;   in Loop: Header=BB0_7082 Depth=1
	s_and_not1_saveexec_b32 s78, s78
; %bb.9619:                             ;   in Loop: Header=BB0_7082 Depth=1
	s_delay_alu instid0(VALU_DEP_1)
	v_add_nc_u32_e32 v8, 0x54000000, v8
; %bb.9620:                             ;   in Loop: Header=BB0_7082 Depth=1
	s_or_b32 exec_lo, exec_lo, s78
.LBB0_9621:                             ;   in Loop: Header=BB0_7082 Depth=1
	s_and_not1_saveexec_b32 s77, s77
; %bb.9622:                             ;   in Loop: Header=BB0_7082 Depth=1
	s_delay_alu instid0(VALU_DEP_1)
	v_add_nc_u32_e32 v8, 0x58000000, v8
; %bb.9623:                             ;   in Loop: Header=BB0_7082 Depth=1
	s_or_b32 exec_lo, exec_lo, s77
.LBB0_9624:                             ;   in Loop: Header=BB0_7082 Depth=1
	s_and_not1_saveexec_b32 s76, s76
; %bb.9625:                             ;   in Loop: Header=BB0_7082 Depth=1
	s_delay_alu instid0(VALU_DEP_1)
	v_add_nc_u32_e32 v8, 0x5c000000, v8
; %bb.9626:                             ;   in Loop: Header=BB0_7082 Depth=1
	s_or_b32 exec_lo, exec_lo, s76
.LBB0_9627:                             ;   in Loop: Header=BB0_7082 Depth=1
	s_and_not1_saveexec_b32 s75, s75
; %bb.9628:                             ;   in Loop: Header=BB0_7082 Depth=1
	s_delay_alu instid0(VALU_DEP_1)
	v_add_nc_u32_e32 v8, 0x60000000, v8
; %bb.9629:                             ;   in Loop: Header=BB0_7082 Depth=1
	s_or_b32 exec_lo, exec_lo, s75
.LBB0_9630:                             ;   in Loop: Header=BB0_7082 Depth=1
	s_and_not1_saveexec_b32 s74, s74
; %bb.9631:                             ;   in Loop: Header=BB0_7082 Depth=1
	s_delay_alu instid0(VALU_DEP_1)
	v_add_nc_u32_e32 v8, 0x64000000, v8
; %bb.9632:                             ;   in Loop: Header=BB0_7082 Depth=1
	s_or_b32 exec_lo, exec_lo, s74
.LBB0_9633:                             ;   in Loop: Header=BB0_7082 Depth=1
	s_and_not1_saveexec_b32 s73, s73
; %bb.9634:                             ;   in Loop: Header=BB0_7082 Depth=1
	s_delay_alu instid0(VALU_DEP_1)
	v_add_nc_u32_e32 v8, 0x68000000, v8
; %bb.9635:                             ;   in Loop: Header=BB0_7082 Depth=1
	s_or_b32 exec_lo, exec_lo, s73
.LBB0_9636:                             ;   in Loop: Header=BB0_7082 Depth=1
	s_and_not1_saveexec_b32 s72, s72
; %bb.9637:                             ;   in Loop: Header=BB0_7082 Depth=1
	s_delay_alu instid0(VALU_DEP_1)
	v_add_nc_u32_e32 v8, 0x6c000000, v8
; %bb.9638:                             ;   in Loop: Header=BB0_7082 Depth=1
	s_or_b32 exec_lo, exec_lo, s72
.LBB0_9639:                             ;   in Loop: Header=BB0_7082 Depth=1
	s_and_not1_saveexec_b32 s71, s71
; %bb.9640:                             ;   in Loop: Header=BB0_7082 Depth=1
	s_delay_alu instid0(VALU_DEP_1)
	v_add_nc_u32_e32 v8, 0x70000000, v8
; %bb.9641:                             ;   in Loop: Header=BB0_7082 Depth=1
	s_or_b32 exec_lo, exec_lo, s71
.LBB0_9642:                             ;   in Loop: Header=BB0_7082 Depth=1
	s_and_not1_saveexec_b32 s70, s70
; %bb.9643:                             ;   in Loop: Header=BB0_7082 Depth=1
	s_delay_alu instid0(VALU_DEP_1)
	v_add_nc_u32_e32 v8, 0x74000000, v8
; %bb.9644:                             ;   in Loop: Header=BB0_7082 Depth=1
	s_or_b32 exec_lo, exec_lo, s70
.LBB0_9645:                             ;   in Loop: Header=BB0_7082 Depth=1
	s_and_not1_saveexec_b32 s69, s69
; %bb.9646:                             ;   in Loop: Header=BB0_7082 Depth=1
	s_delay_alu instid0(VALU_DEP_1)
	v_add_nc_u32_e32 v8, 0x78000000, v8
; %bb.9647:                             ;   in Loop: Header=BB0_7082 Depth=1
	s_or_b32 exec_lo, exec_lo, s69
.LBB0_9648:                             ;   in Loop: Header=BB0_7082 Depth=1
	s_and_not1_saveexec_b32 s68, s68
; %bb.9649:                             ;   in Loop: Header=BB0_7082 Depth=1
	s_delay_alu instid0(VALU_DEP_1)
	v_add_nc_u32_e32 v8, 0x7c000000, v8
; %bb.9650:                             ;   in Loop: Header=BB0_7082 Depth=1
	s_or_b32 exec_lo, exec_lo, s68
	v_dual_mov_b32 v0, s62 :: v_dual_mov_b32 v9, 0x7c
	v_add3_u32 v11, v10, s63, 0x14000
	s_mov_b32 s68, exec_lo
	ds_load_2addr_b64 v[12:15], v0 offset0:72 offset1:73
	ds_load_b64 v[16:17], v0 offset:592
	global_store_b32 v11, v8, s[34:35] scale_offset
	s_wait_dscnt 0x1
	v_mul_f64_e32 v[0:1], v[4:5], v[14:15]
	s_delay_alu instid0(VALU_DEP_1) | instskip(SKIP_1) | instid1(VALU_DEP_1)
	v_fmac_f64_e32 v[0:1], v[2:3], v[12:13]
	s_wait_dscnt 0x0
	v_fmac_f64_e32 v[0:1], v[6:7], v[16:17]
	s_wait_xcnt 0x0
	s_delay_alu instid0(VALU_DEP_1)
	v_cmpx_ngt_f64_e32 s[60:61], v[0:1]
	s_cbranch_execz .LBB0_9712
; %bb.9651:                             ;   in Loop: Header=BB0_7082 Depth=1
	v_mov_b32_e32 v9, 0x78
	s_mov_b32 s69, exec_lo
	v_cmpx_ngt_f64_e32 s[66:67], v[0:1]
	s_cbranch_execz .LBB0_9711
; %bb.9652:                             ;   in Loop: Header=BB0_7082 Depth=1
	v_mov_b32_e32 v9, 0x74
	s_mov_b32 s70, exec_lo
	;; [unrolled: 5-line block ×30, first 2 shown]
	v_cmpx_gt_f64_e32 s[36:37], v[0:1]
; %bb.9681:                             ;   in Loop: Header=BB0_7082 Depth=1
	v_mov_b32_e32 v9, 4
; %bb.9682:                             ;   in Loop: Header=BB0_7082 Depth=1
	s_or_b32 exec_lo, exec_lo, s98
.LBB0_9683:                             ;   in Loop: Header=BB0_7082 Depth=1
	s_delay_alu instid0(SALU_CYCLE_1)
	s_or_b32 exec_lo, exec_lo, s97
.LBB0_9684:                             ;   in Loop: Header=BB0_7082 Depth=1
	s_delay_alu instid0(SALU_CYCLE_1)
	s_or_b32 exec_lo, exec_lo, s96
.LBB0_9685:                             ;   in Loop: Header=BB0_7082 Depth=1
	s_delay_alu instid0(SALU_CYCLE_1)
	s_or_b32 exec_lo, exec_lo, s95
.LBB0_9686:                             ;   in Loop: Header=BB0_7082 Depth=1
	s_delay_alu instid0(SALU_CYCLE_1)
	s_or_b32 exec_lo, exec_lo, s94
.LBB0_9687:                             ;   in Loop: Header=BB0_7082 Depth=1
	s_delay_alu instid0(SALU_CYCLE_1)
	s_or_b32 exec_lo, exec_lo, s93
.LBB0_9688:                             ;   in Loop: Header=BB0_7082 Depth=1
	s_delay_alu instid0(SALU_CYCLE_1)
	s_or_b32 exec_lo, exec_lo, s92
.LBB0_9689:                             ;   in Loop: Header=BB0_7082 Depth=1
	s_delay_alu instid0(SALU_CYCLE_1)
	s_or_b32 exec_lo, exec_lo, s91
.LBB0_9690:                             ;   in Loop: Header=BB0_7082 Depth=1
	s_delay_alu instid0(SALU_CYCLE_1)
	s_or_b32 exec_lo, exec_lo, s90
.LBB0_9691:                             ;   in Loop: Header=BB0_7082 Depth=1
	s_delay_alu instid0(SALU_CYCLE_1)
	s_or_b32 exec_lo, exec_lo, s89
.LBB0_9692:                             ;   in Loop: Header=BB0_7082 Depth=1
	s_delay_alu instid0(SALU_CYCLE_1)
	s_or_b32 exec_lo, exec_lo, s88
.LBB0_9693:                             ;   in Loop: Header=BB0_7082 Depth=1
	s_delay_alu instid0(SALU_CYCLE_1)
	s_or_b32 exec_lo, exec_lo, s87
.LBB0_9694:                             ;   in Loop: Header=BB0_7082 Depth=1
	s_delay_alu instid0(SALU_CYCLE_1)
	s_or_b32 exec_lo, exec_lo, s86
.LBB0_9695:                             ;   in Loop: Header=BB0_7082 Depth=1
	s_delay_alu instid0(SALU_CYCLE_1)
	s_or_b32 exec_lo, exec_lo, s85
.LBB0_9696:                             ;   in Loop: Header=BB0_7082 Depth=1
	s_delay_alu instid0(SALU_CYCLE_1)
	s_or_b32 exec_lo, exec_lo, s84
.LBB0_9697:                             ;   in Loop: Header=BB0_7082 Depth=1
	s_delay_alu instid0(SALU_CYCLE_1)
	s_or_b32 exec_lo, exec_lo, s83
.LBB0_9698:                             ;   in Loop: Header=BB0_7082 Depth=1
	s_delay_alu instid0(SALU_CYCLE_1)
	s_or_b32 exec_lo, exec_lo, s82
.LBB0_9699:                             ;   in Loop: Header=BB0_7082 Depth=1
	s_delay_alu instid0(SALU_CYCLE_1)
	s_or_b32 exec_lo, exec_lo, s81
.LBB0_9700:                             ;   in Loop: Header=BB0_7082 Depth=1
	s_delay_alu instid0(SALU_CYCLE_1)
	s_or_b32 exec_lo, exec_lo, s80
.LBB0_9701:                             ;   in Loop: Header=BB0_7082 Depth=1
	s_delay_alu instid0(SALU_CYCLE_1)
	s_or_b32 exec_lo, exec_lo, s79
.LBB0_9702:                             ;   in Loop: Header=BB0_7082 Depth=1
	s_delay_alu instid0(SALU_CYCLE_1)
	s_or_b32 exec_lo, exec_lo, s78
.LBB0_9703:                             ;   in Loop: Header=BB0_7082 Depth=1
	s_delay_alu instid0(SALU_CYCLE_1)
	s_or_b32 exec_lo, exec_lo, s77
.LBB0_9704:                             ;   in Loop: Header=BB0_7082 Depth=1
	s_delay_alu instid0(SALU_CYCLE_1)
	s_or_b32 exec_lo, exec_lo, s76
.LBB0_9705:                             ;   in Loop: Header=BB0_7082 Depth=1
	s_delay_alu instid0(SALU_CYCLE_1)
	s_or_b32 exec_lo, exec_lo, s75
.LBB0_9706:                             ;   in Loop: Header=BB0_7082 Depth=1
	s_delay_alu instid0(SALU_CYCLE_1)
	s_or_b32 exec_lo, exec_lo, s74
.LBB0_9707:                             ;   in Loop: Header=BB0_7082 Depth=1
	s_delay_alu instid0(SALU_CYCLE_1)
	s_or_b32 exec_lo, exec_lo, s73
.LBB0_9708:                             ;   in Loop: Header=BB0_7082 Depth=1
	s_delay_alu instid0(SALU_CYCLE_1)
	s_or_b32 exec_lo, exec_lo, s72
.LBB0_9709:                             ;   in Loop: Header=BB0_7082 Depth=1
	s_delay_alu instid0(SALU_CYCLE_1)
	s_or_b32 exec_lo, exec_lo, s71
.LBB0_9710:                             ;   in Loop: Header=BB0_7082 Depth=1
	s_delay_alu instid0(SALU_CYCLE_1)
	s_or_b32 exec_lo, exec_lo, s70
.LBB0_9711:                             ;   in Loop: Header=BB0_7082 Depth=1
	s_delay_alu instid0(SALU_CYCLE_1)
	s_or_b32 exec_lo, exec_lo, s69
.LBB0_9712:                             ;   in Loop: Header=BB0_7082 Depth=1
	s_delay_alu instid0(SALU_CYCLE_1)
	s_or_b32 exec_lo, exec_lo, s68
	v_mov_b32_e32 v0, s62
	s_mov_b32 s68, exec_lo
	ds_load_2addr_b64 v[12:15], v0 offset0:75 offset1:76
	ds_load_b64 v[16:17], v0 offset:616
	s_wait_dscnt 0x1
	v_mul_f64_e32 v[0:1], v[4:5], v[14:15]
	s_delay_alu instid0(VALU_DEP_1) | instskip(SKIP_1) | instid1(VALU_DEP_1)
	v_fmac_f64_e32 v[0:1], v[2:3], v[12:13]
	s_wait_dscnt 0x0
	v_fmac_f64_e32 v[0:1], v[6:7], v[16:17]
	s_delay_alu instid0(VALU_DEP_1)
	v_cmpx_ngt_f64_e32 s[60:61], v[0:1]
	s_xor_b32 s68, exec_lo, s68
	s_cbranch_execz .LBB0_9832
; %bb.9713:                             ;   in Loop: Header=BB0_7082 Depth=1
	s_mov_b32 s69, exec_lo
	v_cmpx_ngt_f64_e32 s[66:67], v[0:1]
	s_xor_b32 s69, exec_lo, s69
	s_cbranch_execz .LBB0_9829
; %bb.9714:                             ;   in Loop: Header=BB0_7082 Depth=1
	s_mov_b32 s70, exec_lo
	;; [unrolled: 5-line block ×30, first 2 shown]
	v_cmpx_gt_f64_e32 s[36:37], v[0:1]
; %bb.9743:                             ;   in Loop: Header=BB0_7082 Depth=1
	v_or_b32_e32 v9, 0x400, v9
; %bb.9744:                             ;   in Loop: Header=BB0_7082 Depth=1
	s_or_b32 exec_lo, exec_lo, s98
.LBB0_9745:                             ;   in Loop: Header=BB0_7082 Depth=1
	s_and_not1_saveexec_b32 s97, s97
; %bb.9746:                             ;   in Loop: Header=BB0_7082 Depth=1
	s_delay_alu instid0(VALU_DEP_1)
	v_or_b32_e32 v9, 0x800, v9
; %bb.9747:                             ;   in Loop: Header=BB0_7082 Depth=1
	s_or_b32 exec_lo, exec_lo, s97
.LBB0_9748:                             ;   in Loop: Header=BB0_7082 Depth=1
	s_and_not1_saveexec_b32 s96, s96
; %bb.9749:                             ;   in Loop: Header=BB0_7082 Depth=1
	s_delay_alu instid0(VALU_DEP_1)
	v_or_b32_e32 v9, 0xc00, v9
; %bb.9750:                             ;   in Loop: Header=BB0_7082 Depth=1
	s_or_b32 exec_lo, exec_lo, s96
.LBB0_9751:                             ;   in Loop: Header=BB0_7082 Depth=1
	s_and_not1_saveexec_b32 s95, s95
; %bb.9752:                             ;   in Loop: Header=BB0_7082 Depth=1
	s_delay_alu instid0(VALU_DEP_1)
	v_or_b32_e32 v9, 0x1000, v9
; %bb.9753:                             ;   in Loop: Header=BB0_7082 Depth=1
	s_or_b32 exec_lo, exec_lo, s95
.LBB0_9754:                             ;   in Loop: Header=BB0_7082 Depth=1
	s_and_not1_saveexec_b32 s94, s94
; %bb.9755:                             ;   in Loop: Header=BB0_7082 Depth=1
	s_delay_alu instid0(VALU_DEP_1)
	v_or_b32_e32 v9, 0x1400, v9
; %bb.9756:                             ;   in Loop: Header=BB0_7082 Depth=1
	s_or_b32 exec_lo, exec_lo, s94
.LBB0_9757:                             ;   in Loop: Header=BB0_7082 Depth=1
	s_and_not1_saveexec_b32 s93, s93
; %bb.9758:                             ;   in Loop: Header=BB0_7082 Depth=1
	s_delay_alu instid0(VALU_DEP_1)
	v_or_b32_e32 v9, 0x1800, v9
; %bb.9759:                             ;   in Loop: Header=BB0_7082 Depth=1
	s_or_b32 exec_lo, exec_lo, s93
.LBB0_9760:                             ;   in Loop: Header=BB0_7082 Depth=1
	s_and_not1_saveexec_b32 s92, s92
; %bb.9761:                             ;   in Loop: Header=BB0_7082 Depth=1
	s_delay_alu instid0(VALU_DEP_1)
	v_or_b32_e32 v9, 0x1c00, v9
; %bb.9762:                             ;   in Loop: Header=BB0_7082 Depth=1
	s_or_b32 exec_lo, exec_lo, s92
.LBB0_9763:                             ;   in Loop: Header=BB0_7082 Depth=1
	s_and_not1_saveexec_b32 s91, s91
; %bb.9764:                             ;   in Loop: Header=BB0_7082 Depth=1
	s_delay_alu instid0(VALU_DEP_1)
	v_or_b32_e32 v9, 0x2000, v9
; %bb.9765:                             ;   in Loop: Header=BB0_7082 Depth=1
	s_or_b32 exec_lo, exec_lo, s91
.LBB0_9766:                             ;   in Loop: Header=BB0_7082 Depth=1
	s_and_not1_saveexec_b32 s90, s90
; %bb.9767:                             ;   in Loop: Header=BB0_7082 Depth=1
	s_delay_alu instid0(VALU_DEP_1)
	v_or_b32_e32 v9, 0x2400, v9
; %bb.9768:                             ;   in Loop: Header=BB0_7082 Depth=1
	s_or_b32 exec_lo, exec_lo, s90
.LBB0_9769:                             ;   in Loop: Header=BB0_7082 Depth=1
	s_and_not1_saveexec_b32 s89, s89
; %bb.9770:                             ;   in Loop: Header=BB0_7082 Depth=1
	s_delay_alu instid0(VALU_DEP_1)
	v_or_b32_e32 v9, 0x2800, v9
; %bb.9771:                             ;   in Loop: Header=BB0_7082 Depth=1
	s_or_b32 exec_lo, exec_lo, s89
.LBB0_9772:                             ;   in Loop: Header=BB0_7082 Depth=1
	s_and_not1_saveexec_b32 s88, s88
; %bb.9773:                             ;   in Loop: Header=BB0_7082 Depth=1
	s_delay_alu instid0(VALU_DEP_1)
	v_or_b32_e32 v9, 0x2c00, v9
; %bb.9774:                             ;   in Loop: Header=BB0_7082 Depth=1
	s_or_b32 exec_lo, exec_lo, s88
.LBB0_9775:                             ;   in Loop: Header=BB0_7082 Depth=1
	s_and_not1_saveexec_b32 s87, s87
; %bb.9776:                             ;   in Loop: Header=BB0_7082 Depth=1
	s_delay_alu instid0(VALU_DEP_1)
	v_or_b32_e32 v9, 0x3000, v9
; %bb.9777:                             ;   in Loop: Header=BB0_7082 Depth=1
	s_or_b32 exec_lo, exec_lo, s87
.LBB0_9778:                             ;   in Loop: Header=BB0_7082 Depth=1
	s_and_not1_saveexec_b32 s86, s86
; %bb.9779:                             ;   in Loop: Header=BB0_7082 Depth=1
	s_delay_alu instid0(VALU_DEP_1)
	v_or_b32_e32 v9, 0x3400, v9
; %bb.9780:                             ;   in Loop: Header=BB0_7082 Depth=1
	s_or_b32 exec_lo, exec_lo, s86
.LBB0_9781:                             ;   in Loop: Header=BB0_7082 Depth=1
	s_and_not1_saveexec_b32 s85, s85
; %bb.9782:                             ;   in Loop: Header=BB0_7082 Depth=1
	s_delay_alu instid0(VALU_DEP_1)
	v_or_b32_e32 v9, 0x3800, v9
; %bb.9783:                             ;   in Loop: Header=BB0_7082 Depth=1
	s_or_b32 exec_lo, exec_lo, s85
.LBB0_9784:                             ;   in Loop: Header=BB0_7082 Depth=1
	s_and_not1_saveexec_b32 s84, s84
; %bb.9785:                             ;   in Loop: Header=BB0_7082 Depth=1
	s_delay_alu instid0(VALU_DEP_1)
	v_or_b32_e32 v9, 0x3c00, v9
; %bb.9786:                             ;   in Loop: Header=BB0_7082 Depth=1
	s_or_b32 exec_lo, exec_lo, s84
.LBB0_9787:                             ;   in Loop: Header=BB0_7082 Depth=1
	s_and_not1_saveexec_b32 s83, s83
; %bb.9788:                             ;   in Loop: Header=BB0_7082 Depth=1
	s_delay_alu instid0(VALU_DEP_1)
	v_or_b32_e32 v9, 0x4000, v9
; %bb.9789:                             ;   in Loop: Header=BB0_7082 Depth=1
	s_or_b32 exec_lo, exec_lo, s83
.LBB0_9790:                             ;   in Loop: Header=BB0_7082 Depth=1
	s_and_not1_saveexec_b32 s82, s82
; %bb.9791:                             ;   in Loop: Header=BB0_7082 Depth=1
	s_delay_alu instid0(VALU_DEP_1)
	v_or_b32_e32 v9, 0x4400, v9
; %bb.9792:                             ;   in Loop: Header=BB0_7082 Depth=1
	s_or_b32 exec_lo, exec_lo, s82
.LBB0_9793:                             ;   in Loop: Header=BB0_7082 Depth=1
	s_and_not1_saveexec_b32 s81, s81
; %bb.9794:                             ;   in Loop: Header=BB0_7082 Depth=1
	s_delay_alu instid0(VALU_DEP_1)
	v_or_b32_e32 v9, 0x4800, v9
; %bb.9795:                             ;   in Loop: Header=BB0_7082 Depth=1
	s_or_b32 exec_lo, exec_lo, s81
.LBB0_9796:                             ;   in Loop: Header=BB0_7082 Depth=1
	s_and_not1_saveexec_b32 s80, s80
; %bb.9797:                             ;   in Loop: Header=BB0_7082 Depth=1
	s_delay_alu instid0(VALU_DEP_1)
	v_or_b32_e32 v9, 0x4c00, v9
; %bb.9798:                             ;   in Loop: Header=BB0_7082 Depth=1
	s_or_b32 exec_lo, exec_lo, s80
.LBB0_9799:                             ;   in Loop: Header=BB0_7082 Depth=1
	s_and_not1_saveexec_b32 s79, s79
; %bb.9800:                             ;   in Loop: Header=BB0_7082 Depth=1
	s_delay_alu instid0(VALU_DEP_1)
	v_or_b32_e32 v9, 0x5000, v9
; %bb.9801:                             ;   in Loop: Header=BB0_7082 Depth=1
	s_or_b32 exec_lo, exec_lo, s79
.LBB0_9802:                             ;   in Loop: Header=BB0_7082 Depth=1
	s_and_not1_saveexec_b32 s78, s78
; %bb.9803:                             ;   in Loop: Header=BB0_7082 Depth=1
	s_delay_alu instid0(VALU_DEP_1)
	v_or_b32_e32 v9, 0x5400, v9
; %bb.9804:                             ;   in Loop: Header=BB0_7082 Depth=1
	s_or_b32 exec_lo, exec_lo, s78
.LBB0_9805:                             ;   in Loop: Header=BB0_7082 Depth=1
	s_and_not1_saveexec_b32 s77, s77
; %bb.9806:                             ;   in Loop: Header=BB0_7082 Depth=1
	s_delay_alu instid0(VALU_DEP_1)
	v_or_b32_e32 v9, 0x5800, v9
; %bb.9807:                             ;   in Loop: Header=BB0_7082 Depth=1
	s_or_b32 exec_lo, exec_lo, s77
.LBB0_9808:                             ;   in Loop: Header=BB0_7082 Depth=1
	s_and_not1_saveexec_b32 s76, s76
; %bb.9809:                             ;   in Loop: Header=BB0_7082 Depth=1
	s_delay_alu instid0(VALU_DEP_1)
	v_or_b32_e32 v9, 0x5c00, v9
; %bb.9810:                             ;   in Loop: Header=BB0_7082 Depth=1
	s_or_b32 exec_lo, exec_lo, s76
.LBB0_9811:                             ;   in Loop: Header=BB0_7082 Depth=1
	s_and_not1_saveexec_b32 s75, s75
; %bb.9812:                             ;   in Loop: Header=BB0_7082 Depth=1
	s_delay_alu instid0(VALU_DEP_1)
	v_or_b32_e32 v9, 0x6000, v9
; %bb.9813:                             ;   in Loop: Header=BB0_7082 Depth=1
	s_or_b32 exec_lo, exec_lo, s75
.LBB0_9814:                             ;   in Loop: Header=BB0_7082 Depth=1
	s_and_not1_saveexec_b32 s74, s74
; %bb.9815:                             ;   in Loop: Header=BB0_7082 Depth=1
	s_delay_alu instid0(VALU_DEP_1)
	v_or_b32_e32 v9, 0x6400, v9
; %bb.9816:                             ;   in Loop: Header=BB0_7082 Depth=1
	s_or_b32 exec_lo, exec_lo, s74
.LBB0_9817:                             ;   in Loop: Header=BB0_7082 Depth=1
	s_and_not1_saveexec_b32 s73, s73
; %bb.9818:                             ;   in Loop: Header=BB0_7082 Depth=1
	s_delay_alu instid0(VALU_DEP_1)
	v_or_b32_e32 v9, 0x6800, v9
; %bb.9819:                             ;   in Loop: Header=BB0_7082 Depth=1
	s_or_b32 exec_lo, exec_lo, s73
.LBB0_9820:                             ;   in Loop: Header=BB0_7082 Depth=1
	s_and_not1_saveexec_b32 s72, s72
; %bb.9821:                             ;   in Loop: Header=BB0_7082 Depth=1
	s_delay_alu instid0(VALU_DEP_1)
	v_or_b32_e32 v9, 0x6c00, v9
; %bb.9822:                             ;   in Loop: Header=BB0_7082 Depth=1
	s_or_b32 exec_lo, exec_lo, s72
.LBB0_9823:                             ;   in Loop: Header=BB0_7082 Depth=1
	s_and_not1_saveexec_b32 s71, s71
; %bb.9824:                             ;   in Loop: Header=BB0_7082 Depth=1
	s_delay_alu instid0(VALU_DEP_1)
	v_or_b32_e32 v9, 0x7000, v9
; %bb.9825:                             ;   in Loop: Header=BB0_7082 Depth=1
	s_or_b32 exec_lo, exec_lo, s71
.LBB0_9826:                             ;   in Loop: Header=BB0_7082 Depth=1
	s_and_not1_saveexec_b32 s70, s70
; %bb.9827:                             ;   in Loop: Header=BB0_7082 Depth=1
	s_delay_alu instid0(VALU_DEP_1)
	v_or_b32_e32 v9, 0x7400, v9
; %bb.9828:                             ;   in Loop: Header=BB0_7082 Depth=1
	s_or_b32 exec_lo, exec_lo, s70
.LBB0_9829:                             ;   in Loop: Header=BB0_7082 Depth=1
	s_and_not1_saveexec_b32 s69, s69
; %bb.9830:                             ;   in Loop: Header=BB0_7082 Depth=1
	s_delay_alu instid0(VALU_DEP_1)
	v_or_b32_e32 v9, 0x7800, v9
; %bb.9831:                             ;   in Loop: Header=BB0_7082 Depth=1
	s_or_b32 exec_lo, exec_lo, s69
.LBB0_9832:                             ;   in Loop: Header=BB0_7082 Depth=1
	s_and_not1_saveexec_b32 s68, s68
; %bb.9833:                             ;   in Loop: Header=BB0_7082 Depth=1
	s_delay_alu instid0(VALU_DEP_1)
	v_or_b32_e32 v9, 0x7c00, v9
; %bb.9834:                             ;   in Loop: Header=BB0_7082 Depth=1
	s_or_b32 exec_lo, exec_lo, s68
	v_mov_b32_e32 v0, s62
	s_mov_b32 s68, exec_lo
	ds_load_2addr_b64 v[12:15], v0 offset0:78 offset1:79
	ds_load_b64 v[16:17], v0 offset:640
	s_wait_dscnt 0x1
	v_mul_f64_e32 v[0:1], v[4:5], v[14:15]
	s_delay_alu instid0(VALU_DEP_1) | instskip(SKIP_1) | instid1(VALU_DEP_1)
	v_fmac_f64_e32 v[0:1], v[2:3], v[12:13]
	s_wait_dscnt 0x0
	v_fmac_f64_e32 v[0:1], v[6:7], v[16:17]
	s_delay_alu instid0(VALU_DEP_1)
	v_cmpx_ngt_f64_e32 s[60:61], v[0:1]
	s_xor_b32 s68, exec_lo, s68
	s_cbranch_execz .LBB0_9954
; %bb.9835:                             ;   in Loop: Header=BB0_7082 Depth=1
	s_mov_b32 s69, exec_lo
	v_cmpx_ngt_f64_e32 s[66:67], v[0:1]
	s_xor_b32 s69, exec_lo, s69
	s_cbranch_execz .LBB0_9951
; %bb.9836:                             ;   in Loop: Header=BB0_7082 Depth=1
	s_mov_b32 s70, exec_lo
	;; [unrolled: 5-line block ×30, first 2 shown]
	v_cmpx_gt_f64_e32 s[36:37], v[0:1]
; %bb.9865:                             ;   in Loop: Header=BB0_7082 Depth=1
	v_add_nc_u32_e32 v9, 0x40000, v9
; %bb.9866:                             ;   in Loop: Header=BB0_7082 Depth=1
	s_or_b32 exec_lo, exec_lo, s98
.LBB0_9867:                             ;   in Loop: Header=BB0_7082 Depth=1
	s_and_not1_saveexec_b32 s97, s97
; %bb.9868:                             ;   in Loop: Header=BB0_7082 Depth=1
	s_delay_alu instid0(VALU_DEP_1)
	v_add_nc_u32_e32 v9, 0x80000, v9
; %bb.9869:                             ;   in Loop: Header=BB0_7082 Depth=1
	s_or_b32 exec_lo, exec_lo, s97
.LBB0_9870:                             ;   in Loop: Header=BB0_7082 Depth=1
	s_and_not1_saveexec_b32 s96, s96
; %bb.9871:                             ;   in Loop: Header=BB0_7082 Depth=1
	s_delay_alu instid0(VALU_DEP_1)
	v_add_nc_u32_e32 v9, 0xc0000, v9
; %bb.9872:                             ;   in Loop: Header=BB0_7082 Depth=1
	s_or_b32 exec_lo, exec_lo, s96
.LBB0_9873:                             ;   in Loop: Header=BB0_7082 Depth=1
	s_and_not1_saveexec_b32 s95, s95
; %bb.9874:                             ;   in Loop: Header=BB0_7082 Depth=1
	s_delay_alu instid0(VALU_DEP_1)
	v_add_nc_u32_e32 v9, 0x100000, v9
; %bb.9875:                             ;   in Loop: Header=BB0_7082 Depth=1
	s_or_b32 exec_lo, exec_lo, s95
.LBB0_9876:                             ;   in Loop: Header=BB0_7082 Depth=1
	s_and_not1_saveexec_b32 s94, s94
; %bb.9877:                             ;   in Loop: Header=BB0_7082 Depth=1
	s_delay_alu instid0(VALU_DEP_1)
	v_add_nc_u32_e32 v9, 0x140000, v9
; %bb.9878:                             ;   in Loop: Header=BB0_7082 Depth=1
	s_or_b32 exec_lo, exec_lo, s94
.LBB0_9879:                             ;   in Loop: Header=BB0_7082 Depth=1
	s_and_not1_saveexec_b32 s93, s93
; %bb.9880:                             ;   in Loop: Header=BB0_7082 Depth=1
	s_delay_alu instid0(VALU_DEP_1)
	v_add_nc_u32_e32 v9, 0x180000, v9
; %bb.9881:                             ;   in Loop: Header=BB0_7082 Depth=1
	s_or_b32 exec_lo, exec_lo, s93
.LBB0_9882:                             ;   in Loop: Header=BB0_7082 Depth=1
	s_and_not1_saveexec_b32 s92, s92
; %bb.9883:                             ;   in Loop: Header=BB0_7082 Depth=1
	s_delay_alu instid0(VALU_DEP_1)
	v_add_nc_u32_e32 v9, 0x1c0000, v9
; %bb.9884:                             ;   in Loop: Header=BB0_7082 Depth=1
	s_or_b32 exec_lo, exec_lo, s92
.LBB0_9885:                             ;   in Loop: Header=BB0_7082 Depth=1
	s_and_not1_saveexec_b32 s91, s91
; %bb.9886:                             ;   in Loop: Header=BB0_7082 Depth=1
	s_delay_alu instid0(VALU_DEP_1)
	v_add_nc_u32_e32 v9, 0x200000, v9
; %bb.9887:                             ;   in Loop: Header=BB0_7082 Depth=1
	s_or_b32 exec_lo, exec_lo, s91
.LBB0_9888:                             ;   in Loop: Header=BB0_7082 Depth=1
	s_and_not1_saveexec_b32 s90, s90
; %bb.9889:                             ;   in Loop: Header=BB0_7082 Depth=1
	s_delay_alu instid0(VALU_DEP_1)
	v_add_nc_u32_e32 v9, 0x240000, v9
; %bb.9890:                             ;   in Loop: Header=BB0_7082 Depth=1
	s_or_b32 exec_lo, exec_lo, s90
.LBB0_9891:                             ;   in Loop: Header=BB0_7082 Depth=1
	s_and_not1_saveexec_b32 s89, s89
; %bb.9892:                             ;   in Loop: Header=BB0_7082 Depth=1
	s_delay_alu instid0(VALU_DEP_1)
	v_add_nc_u32_e32 v9, 0x280000, v9
; %bb.9893:                             ;   in Loop: Header=BB0_7082 Depth=1
	s_or_b32 exec_lo, exec_lo, s89
.LBB0_9894:                             ;   in Loop: Header=BB0_7082 Depth=1
	s_and_not1_saveexec_b32 s88, s88
; %bb.9895:                             ;   in Loop: Header=BB0_7082 Depth=1
	s_delay_alu instid0(VALU_DEP_1)
	v_add_nc_u32_e32 v9, 0x2c0000, v9
; %bb.9896:                             ;   in Loop: Header=BB0_7082 Depth=1
	s_or_b32 exec_lo, exec_lo, s88
.LBB0_9897:                             ;   in Loop: Header=BB0_7082 Depth=1
	s_and_not1_saveexec_b32 s87, s87
; %bb.9898:                             ;   in Loop: Header=BB0_7082 Depth=1
	s_delay_alu instid0(VALU_DEP_1)
	v_add_nc_u32_e32 v9, 0x300000, v9
; %bb.9899:                             ;   in Loop: Header=BB0_7082 Depth=1
	s_or_b32 exec_lo, exec_lo, s87
.LBB0_9900:                             ;   in Loop: Header=BB0_7082 Depth=1
	s_and_not1_saveexec_b32 s86, s86
; %bb.9901:                             ;   in Loop: Header=BB0_7082 Depth=1
	s_delay_alu instid0(VALU_DEP_1)
	v_add_nc_u32_e32 v9, 0x340000, v9
; %bb.9902:                             ;   in Loop: Header=BB0_7082 Depth=1
	s_or_b32 exec_lo, exec_lo, s86
.LBB0_9903:                             ;   in Loop: Header=BB0_7082 Depth=1
	s_and_not1_saveexec_b32 s85, s85
; %bb.9904:                             ;   in Loop: Header=BB0_7082 Depth=1
	s_delay_alu instid0(VALU_DEP_1)
	v_add_nc_u32_e32 v9, 0x380000, v9
; %bb.9905:                             ;   in Loop: Header=BB0_7082 Depth=1
	s_or_b32 exec_lo, exec_lo, s85
.LBB0_9906:                             ;   in Loop: Header=BB0_7082 Depth=1
	s_and_not1_saveexec_b32 s84, s84
; %bb.9907:                             ;   in Loop: Header=BB0_7082 Depth=1
	s_delay_alu instid0(VALU_DEP_1)
	v_add_nc_u32_e32 v9, 0x3c0000, v9
; %bb.9908:                             ;   in Loop: Header=BB0_7082 Depth=1
	s_or_b32 exec_lo, exec_lo, s84
.LBB0_9909:                             ;   in Loop: Header=BB0_7082 Depth=1
	s_and_not1_saveexec_b32 s83, s83
; %bb.9910:                             ;   in Loop: Header=BB0_7082 Depth=1
	s_delay_alu instid0(VALU_DEP_1)
	v_add_nc_u32_e32 v9, 0x400000, v9
; %bb.9911:                             ;   in Loop: Header=BB0_7082 Depth=1
	s_or_b32 exec_lo, exec_lo, s83
.LBB0_9912:                             ;   in Loop: Header=BB0_7082 Depth=1
	s_and_not1_saveexec_b32 s82, s82
; %bb.9913:                             ;   in Loop: Header=BB0_7082 Depth=1
	s_delay_alu instid0(VALU_DEP_1)
	v_add_nc_u32_e32 v9, 0x440000, v9
; %bb.9914:                             ;   in Loop: Header=BB0_7082 Depth=1
	s_or_b32 exec_lo, exec_lo, s82
.LBB0_9915:                             ;   in Loop: Header=BB0_7082 Depth=1
	s_and_not1_saveexec_b32 s81, s81
; %bb.9916:                             ;   in Loop: Header=BB0_7082 Depth=1
	s_delay_alu instid0(VALU_DEP_1)
	v_add_nc_u32_e32 v9, 0x480000, v9
; %bb.9917:                             ;   in Loop: Header=BB0_7082 Depth=1
	s_or_b32 exec_lo, exec_lo, s81
.LBB0_9918:                             ;   in Loop: Header=BB0_7082 Depth=1
	s_and_not1_saveexec_b32 s80, s80
; %bb.9919:                             ;   in Loop: Header=BB0_7082 Depth=1
	s_delay_alu instid0(VALU_DEP_1)
	v_add_nc_u32_e32 v9, 0x4c0000, v9
; %bb.9920:                             ;   in Loop: Header=BB0_7082 Depth=1
	s_or_b32 exec_lo, exec_lo, s80
.LBB0_9921:                             ;   in Loop: Header=BB0_7082 Depth=1
	s_and_not1_saveexec_b32 s79, s79
; %bb.9922:                             ;   in Loop: Header=BB0_7082 Depth=1
	s_delay_alu instid0(VALU_DEP_1)
	v_add_nc_u32_e32 v9, 0x500000, v9
; %bb.9923:                             ;   in Loop: Header=BB0_7082 Depth=1
	s_or_b32 exec_lo, exec_lo, s79
.LBB0_9924:                             ;   in Loop: Header=BB0_7082 Depth=1
	s_and_not1_saveexec_b32 s78, s78
; %bb.9925:                             ;   in Loop: Header=BB0_7082 Depth=1
	s_delay_alu instid0(VALU_DEP_1)
	v_add_nc_u32_e32 v9, 0x540000, v9
; %bb.9926:                             ;   in Loop: Header=BB0_7082 Depth=1
	s_or_b32 exec_lo, exec_lo, s78
.LBB0_9927:                             ;   in Loop: Header=BB0_7082 Depth=1
	s_and_not1_saveexec_b32 s77, s77
; %bb.9928:                             ;   in Loop: Header=BB0_7082 Depth=1
	s_delay_alu instid0(VALU_DEP_1)
	v_add_nc_u32_e32 v9, 0x580000, v9
; %bb.9929:                             ;   in Loop: Header=BB0_7082 Depth=1
	s_or_b32 exec_lo, exec_lo, s77
.LBB0_9930:                             ;   in Loop: Header=BB0_7082 Depth=1
	s_and_not1_saveexec_b32 s76, s76
; %bb.9931:                             ;   in Loop: Header=BB0_7082 Depth=1
	s_delay_alu instid0(VALU_DEP_1)
	v_add_nc_u32_e32 v9, 0x5c0000, v9
; %bb.9932:                             ;   in Loop: Header=BB0_7082 Depth=1
	s_or_b32 exec_lo, exec_lo, s76
.LBB0_9933:                             ;   in Loop: Header=BB0_7082 Depth=1
	s_and_not1_saveexec_b32 s75, s75
; %bb.9934:                             ;   in Loop: Header=BB0_7082 Depth=1
	s_delay_alu instid0(VALU_DEP_1)
	v_add_nc_u32_e32 v9, 0x600000, v9
; %bb.9935:                             ;   in Loop: Header=BB0_7082 Depth=1
	s_or_b32 exec_lo, exec_lo, s75
.LBB0_9936:                             ;   in Loop: Header=BB0_7082 Depth=1
	s_and_not1_saveexec_b32 s74, s74
; %bb.9937:                             ;   in Loop: Header=BB0_7082 Depth=1
	s_delay_alu instid0(VALU_DEP_1)
	v_add_nc_u32_e32 v9, 0x640000, v9
; %bb.9938:                             ;   in Loop: Header=BB0_7082 Depth=1
	s_or_b32 exec_lo, exec_lo, s74
.LBB0_9939:                             ;   in Loop: Header=BB0_7082 Depth=1
	s_and_not1_saveexec_b32 s73, s73
; %bb.9940:                             ;   in Loop: Header=BB0_7082 Depth=1
	s_delay_alu instid0(VALU_DEP_1)
	v_add_nc_u32_e32 v9, 0x680000, v9
; %bb.9941:                             ;   in Loop: Header=BB0_7082 Depth=1
	s_or_b32 exec_lo, exec_lo, s73
.LBB0_9942:                             ;   in Loop: Header=BB0_7082 Depth=1
	s_and_not1_saveexec_b32 s72, s72
; %bb.9943:                             ;   in Loop: Header=BB0_7082 Depth=1
	s_delay_alu instid0(VALU_DEP_1)
	v_add_nc_u32_e32 v9, 0x6c0000, v9
; %bb.9944:                             ;   in Loop: Header=BB0_7082 Depth=1
	s_or_b32 exec_lo, exec_lo, s72
.LBB0_9945:                             ;   in Loop: Header=BB0_7082 Depth=1
	s_and_not1_saveexec_b32 s71, s71
; %bb.9946:                             ;   in Loop: Header=BB0_7082 Depth=1
	s_delay_alu instid0(VALU_DEP_1)
	v_add_nc_u32_e32 v9, 0x700000, v9
; %bb.9947:                             ;   in Loop: Header=BB0_7082 Depth=1
	s_or_b32 exec_lo, exec_lo, s71
.LBB0_9948:                             ;   in Loop: Header=BB0_7082 Depth=1
	s_and_not1_saveexec_b32 s70, s70
; %bb.9949:                             ;   in Loop: Header=BB0_7082 Depth=1
	s_delay_alu instid0(VALU_DEP_1)
	v_add_nc_u32_e32 v9, 0x740000, v9
; %bb.9950:                             ;   in Loop: Header=BB0_7082 Depth=1
	s_or_b32 exec_lo, exec_lo, s70
.LBB0_9951:                             ;   in Loop: Header=BB0_7082 Depth=1
	s_and_not1_saveexec_b32 s69, s69
; %bb.9952:                             ;   in Loop: Header=BB0_7082 Depth=1
	s_delay_alu instid0(VALU_DEP_1)
	v_add_nc_u32_e32 v9, 0x780000, v9
; %bb.9953:                             ;   in Loop: Header=BB0_7082 Depth=1
	s_or_b32 exec_lo, exec_lo, s69
.LBB0_9954:                             ;   in Loop: Header=BB0_7082 Depth=1
	s_and_not1_saveexec_b32 s68, s68
; %bb.9955:                             ;   in Loop: Header=BB0_7082 Depth=1
	s_delay_alu instid0(VALU_DEP_1)
	v_add_nc_u32_e32 v9, 0x7c0000, v9
; %bb.9956:                             ;   in Loop: Header=BB0_7082 Depth=1
	s_or_b32 exec_lo, exec_lo, s68
	v_mov_b32_e32 v0, s62
	s_mov_b32 s68, exec_lo
	ds_load_2addr_b64 v[12:15], v0 offset0:81 offset1:82
	ds_load_b64 v[16:17], v0 offset:664
	s_wait_dscnt 0x1
	v_mul_f64_e32 v[0:1], v[4:5], v[14:15]
	s_delay_alu instid0(VALU_DEP_1) | instskip(SKIP_1) | instid1(VALU_DEP_1)
	v_fmac_f64_e32 v[0:1], v[2:3], v[12:13]
	s_wait_dscnt 0x0
	v_fmac_f64_e32 v[0:1], v[6:7], v[16:17]
	s_delay_alu instid0(VALU_DEP_1)
	v_cmpx_ngt_f64_e32 s[60:61], v[0:1]
	s_xor_b32 s68, exec_lo, s68
	s_cbranch_execz .LBB0_10076
; %bb.9957:                             ;   in Loop: Header=BB0_7082 Depth=1
	s_mov_b32 s69, exec_lo
	v_cmpx_ngt_f64_e32 s[66:67], v[0:1]
	s_xor_b32 s69, exec_lo, s69
	s_cbranch_execz .LBB0_10073
; %bb.9958:                             ;   in Loop: Header=BB0_7082 Depth=1
	s_mov_b32 s70, exec_lo
	;; [unrolled: 5-line block ×30, first 2 shown]
	v_cmpx_gt_f64_e32 s[36:37], v[0:1]
; %bb.9987:                             ;   in Loop: Header=BB0_7082 Depth=1
	v_add_nc_u32_e32 v9, 0x4000000, v9
; %bb.9988:                             ;   in Loop: Header=BB0_7082 Depth=1
	s_or_b32 exec_lo, exec_lo, s98
.LBB0_9989:                             ;   in Loop: Header=BB0_7082 Depth=1
	s_and_not1_saveexec_b32 s97, s97
; %bb.9990:                             ;   in Loop: Header=BB0_7082 Depth=1
	s_delay_alu instid0(VALU_DEP_1)
	v_add_nc_u32_e32 v9, 0x8000000, v9
; %bb.9991:                             ;   in Loop: Header=BB0_7082 Depth=1
	s_or_b32 exec_lo, exec_lo, s97
.LBB0_9992:                             ;   in Loop: Header=BB0_7082 Depth=1
	s_and_not1_saveexec_b32 s96, s96
; %bb.9993:                             ;   in Loop: Header=BB0_7082 Depth=1
	s_delay_alu instid0(VALU_DEP_1)
	v_add_nc_u32_e32 v9, 0xc000000, v9
; %bb.9994:                             ;   in Loop: Header=BB0_7082 Depth=1
	s_or_b32 exec_lo, exec_lo, s96
.LBB0_9995:                             ;   in Loop: Header=BB0_7082 Depth=1
	s_and_not1_saveexec_b32 s95, s95
; %bb.9996:                             ;   in Loop: Header=BB0_7082 Depth=1
	s_delay_alu instid0(VALU_DEP_1)
	v_add_nc_u32_e32 v9, 0x10000000, v9
; %bb.9997:                             ;   in Loop: Header=BB0_7082 Depth=1
	s_or_b32 exec_lo, exec_lo, s95
.LBB0_9998:                             ;   in Loop: Header=BB0_7082 Depth=1
	s_and_not1_saveexec_b32 s94, s94
; %bb.9999:                             ;   in Loop: Header=BB0_7082 Depth=1
	s_delay_alu instid0(VALU_DEP_1)
	v_add_nc_u32_e32 v9, 0x14000000, v9
; %bb.10000:                            ;   in Loop: Header=BB0_7082 Depth=1
	s_or_b32 exec_lo, exec_lo, s94
.LBB0_10001:                            ;   in Loop: Header=BB0_7082 Depth=1
	s_and_not1_saveexec_b32 s93, s93
; %bb.10002:                            ;   in Loop: Header=BB0_7082 Depth=1
	s_delay_alu instid0(VALU_DEP_1)
	v_add_nc_u32_e32 v9, 0x18000000, v9
; %bb.10003:                            ;   in Loop: Header=BB0_7082 Depth=1
	s_or_b32 exec_lo, exec_lo, s93
.LBB0_10004:                            ;   in Loop: Header=BB0_7082 Depth=1
	s_and_not1_saveexec_b32 s92, s92
; %bb.10005:                            ;   in Loop: Header=BB0_7082 Depth=1
	s_delay_alu instid0(VALU_DEP_1)
	v_add_nc_u32_e32 v9, 0x1c000000, v9
; %bb.10006:                            ;   in Loop: Header=BB0_7082 Depth=1
	s_or_b32 exec_lo, exec_lo, s92
.LBB0_10007:                            ;   in Loop: Header=BB0_7082 Depth=1
	s_and_not1_saveexec_b32 s91, s91
; %bb.10008:                            ;   in Loop: Header=BB0_7082 Depth=1
	s_delay_alu instid0(VALU_DEP_1)
	v_add_nc_u32_e32 v9, 0x20000000, v9
; %bb.10009:                            ;   in Loop: Header=BB0_7082 Depth=1
	s_or_b32 exec_lo, exec_lo, s91
.LBB0_10010:                            ;   in Loop: Header=BB0_7082 Depth=1
	s_and_not1_saveexec_b32 s90, s90
; %bb.10011:                            ;   in Loop: Header=BB0_7082 Depth=1
	s_delay_alu instid0(VALU_DEP_1)
	v_add_nc_u32_e32 v9, 0x24000000, v9
; %bb.10012:                            ;   in Loop: Header=BB0_7082 Depth=1
	s_or_b32 exec_lo, exec_lo, s90
.LBB0_10013:                            ;   in Loop: Header=BB0_7082 Depth=1
	s_and_not1_saveexec_b32 s89, s89
; %bb.10014:                            ;   in Loop: Header=BB0_7082 Depth=1
	s_delay_alu instid0(VALU_DEP_1)
	v_add_nc_u32_e32 v9, 0x28000000, v9
; %bb.10015:                            ;   in Loop: Header=BB0_7082 Depth=1
	s_or_b32 exec_lo, exec_lo, s89
.LBB0_10016:                            ;   in Loop: Header=BB0_7082 Depth=1
	s_and_not1_saveexec_b32 s88, s88
; %bb.10017:                            ;   in Loop: Header=BB0_7082 Depth=1
	s_delay_alu instid0(VALU_DEP_1)
	v_add_nc_u32_e32 v9, 0x2c000000, v9
; %bb.10018:                            ;   in Loop: Header=BB0_7082 Depth=1
	s_or_b32 exec_lo, exec_lo, s88
.LBB0_10019:                            ;   in Loop: Header=BB0_7082 Depth=1
	s_and_not1_saveexec_b32 s87, s87
; %bb.10020:                            ;   in Loop: Header=BB0_7082 Depth=1
	s_delay_alu instid0(VALU_DEP_1)
	v_add_nc_u32_e32 v9, 0x30000000, v9
; %bb.10021:                            ;   in Loop: Header=BB0_7082 Depth=1
	s_or_b32 exec_lo, exec_lo, s87
.LBB0_10022:                            ;   in Loop: Header=BB0_7082 Depth=1
	s_and_not1_saveexec_b32 s86, s86
; %bb.10023:                            ;   in Loop: Header=BB0_7082 Depth=1
	s_delay_alu instid0(VALU_DEP_1)
	v_add_nc_u32_e32 v9, 0x34000000, v9
; %bb.10024:                            ;   in Loop: Header=BB0_7082 Depth=1
	s_or_b32 exec_lo, exec_lo, s86
.LBB0_10025:                            ;   in Loop: Header=BB0_7082 Depth=1
	s_and_not1_saveexec_b32 s85, s85
; %bb.10026:                            ;   in Loop: Header=BB0_7082 Depth=1
	s_delay_alu instid0(VALU_DEP_1)
	v_add_nc_u32_e32 v9, 0x38000000, v9
; %bb.10027:                            ;   in Loop: Header=BB0_7082 Depth=1
	s_or_b32 exec_lo, exec_lo, s85
.LBB0_10028:                            ;   in Loop: Header=BB0_7082 Depth=1
	s_and_not1_saveexec_b32 s84, s84
; %bb.10029:                            ;   in Loop: Header=BB0_7082 Depth=1
	s_delay_alu instid0(VALU_DEP_1)
	v_add_nc_u32_e32 v9, 0x3c000000, v9
; %bb.10030:                            ;   in Loop: Header=BB0_7082 Depth=1
	s_or_b32 exec_lo, exec_lo, s84
.LBB0_10031:                            ;   in Loop: Header=BB0_7082 Depth=1
	s_and_not1_saveexec_b32 s83, s83
; %bb.10032:                            ;   in Loop: Header=BB0_7082 Depth=1
	s_delay_alu instid0(VALU_DEP_1)
	v_add_nc_u32_e32 v9, 2.0, v9
; %bb.10033:                            ;   in Loop: Header=BB0_7082 Depth=1
	s_or_b32 exec_lo, exec_lo, s83
.LBB0_10034:                            ;   in Loop: Header=BB0_7082 Depth=1
	s_and_not1_saveexec_b32 s82, s82
; %bb.10035:                            ;   in Loop: Header=BB0_7082 Depth=1
	s_delay_alu instid0(VALU_DEP_1)
	v_add_nc_u32_e32 v9, 0x44000000, v9
; %bb.10036:                            ;   in Loop: Header=BB0_7082 Depth=1
	s_or_b32 exec_lo, exec_lo, s82
.LBB0_10037:                            ;   in Loop: Header=BB0_7082 Depth=1
	s_and_not1_saveexec_b32 s81, s81
; %bb.10038:                            ;   in Loop: Header=BB0_7082 Depth=1
	s_delay_alu instid0(VALU_DEP_1)
	v_add_nc_u32_e32 v9, 0x48000000, v9
; %bb.10039:                            ;   in Loop: Header=BB0_7082 Depth=1
	s_or_b32 exec_lo, exec_lo, s81
.LBB0_10040:                            ;   in Loop: Header=BB0_7082 Depth=1
	s_and_not1_saveexec_b32 s80, s80
; %bb.10041:                            ;   in Loop: Header=BB0_7082 Depth=1
	s_delay_alu instid0(VALU_DEP_1)
	v_add_nc_u32_e32 v9, 0x4c000000, v9
; %bb.10042:                            ;   in Loop: Header=BB0_7082 Depth=1
	s_or_b32 exec_lo, exec_lo, s80
.LBB0_10043:                            ;   in Loop: Header=BB0_7082 Depth=1
	s_and_not1_saveexec_b32 s79, s79
; %bb.10044:                            ;   in Loop: Header=BB0_7082 Depth=1
	s_delay_alu instid0(VALU_DEP_1)
	v_add_nc_u32_e32 v9, 0x50000000, v9
; %bb.10045:                            ;   in Loop: Header=BB0_7082 Depth=1
	s_or_b32 exec_lo, exec_lo, s79
.LBB0_10046:                            ;   in Loop: Header=BB0_7082 Depth=1
	s_and_not1_saveexec_b32 s78, s78
; %bb.10047:                            ;   in Loop: Header=BB0_7082 Depth=1
	s_delay_alu instid0(VALU_DEP_1)
	v_add_nc_u32_e32 v9, 0x54000000, v9
; %bb.10048:                            ;   in Loop: Header=BB0_7082 Depth=1
	s_or_b32 exec_lo, exec_lo, s78
.LBB0_10049:                            ;   in Loop: Header=BB0_7082 Depth=1
	s_and_not1_saveexec_b32 s77, s77
; %bb.10050:                            ;   in Loop: Header=BB0_7082 Depth=1
	s_delay_alu instid0(VALU_DEP_1)
	v_add_nc_u32_e32 v9, 0x58000000, v9
; %bb.10051:                            ;   in Loop: Header=BB0_7082 Depth=1
	s_or_b32 exec_lo, exec_lo, s77
.LBB0_10052:                            ;   in Loop: Header=BB0_7082 Depth=1
	s_and_not1_saveexec_b32 s76, s76
; %bb.10053:                            ;   in Loop: Header=BB0_7082 Depth=1
	s_delay_alu instid0(VALU_DEP_1)
	v_add_nc_u32_e32 v9, 0x5c000000, v9
; %bb.10054:                            ;   in Loop: Header=BB0_7082 Depth=1
	s_or_b32 exec_lo, exec_lo, s76
.LBB0_10055:                            ;   in Loop: Header=BB0_7082 Depth=1
	s_and_not1_saveexec_b32 s75, s75
; %bb.10056:                            ;   in Loop: Header=BB0_7082 Depth=1
	s_delay_alu instid0(VALU_DEP_1)
	v_add_nc_u32_e32 v9, 0x60000000, v9
; %bb.10057:                            ;   in Loop: Header=BB0_7082 Depth=1
	s_or_b32 exec_lo, exec_lo, s75
.LBB0_10058:                            ;   in Loop: Header=BB0_7082 Depth=1
	s_and_not1_saveexec_b32 s74, s74
; %bb.10059:                            ;   in Loop: Header=BB0_7082 Depth=1
	s_delay_alu instid0(VALU_DEP_1)
	v_add_nc_u32_e32 v9, 0x64000000, v9
; %bb.10060:                            ;   in Loop: Header=BB0_7082 Depth=1
	s_or_b32 exec_lo, exec_lo, s74
.LBB0_10061:                            ;   in Loop: Header=BB0_7082 Depth=1
	s_and_not1_saveexec_b32 s73, s73
; %bb.10062:                            ;   in Loop: Header=BB0_7082 Depth=1
	s_delay_alu instid0(VALU_DEP_1)
	v_add_nc_u32_e32 v9, 0x68000000, v9
; %bb.10063:                            ;   in Loop: Header=BB0_7082 Depth=1
	s_or_b32 exec_lo, exec_lo, s73
.LBB0_10064:                            ;   in Loop: Header=BB0_7082 Depth=1
	s_and_not1_saveexec_b32 s72, s72
; %bb.10065:                            ;   in Loop: Header=BB0_7082 Depth=1
	s_delay_alu instid0(VALU_DEP_1)
	v_add_nc_u32_e32 v9, 0x6c000000, v9
; %bb.10066:                            ;   in Loop: Header=BB0_7082 Depth=1
	s_or_b32 exec_lo, exec_lo, s72
.LBB0_10067:                            ;   in Loop: Header=BB0_7082 Depth=1
	s_and_not1_saveexec_b32 s71, s71
; %bb.10068:                            ;   in Loop: Header=BB0_7082 Depth=1
	s_delay_alu instid0(VALU_DEP_1)
	v_add_nc_u32_e32 v9, 0x70000000, v9
; %bb.10069:                            ;   in Loop: Header=BB0_7082 Depth=1
	s_or_b32 exec_lo, exec_lo, s71
.LBB0_10070:                            ;   in Loop: Header=BB0_7082 Depth=1
	s_and_not1_saveexec_b32 s70, s70
; %bb.10071:                            ;   in Loop: Header=BB0_7082 Depth=1
	s_delay_alu instid0(VALU_DEP_1)
	v_add_nc_u32_e32 v9, 0x74000000, v9
; %bb.10072:                            ;   in Loop: Header=BB0_7082 Depth=1
	s_or_b32 exec_lo, exec_lo, s70
.LBB0_10073:                            ;   in Loop: Header=BB0_7082 Depth=1
	s_and_not1_saveexec_b32 s69, s69
; %bb.10074:                            ;   in Loop: Header=BB0_7082 Depth=1
	s_delay_alu instid0(VALU_DEP_1)
	v_add_nc_u32_e32 v9, 0x78000000, v9
; %bb.10075:                            ;   in Loop: Header=BB0_7082 Depth=1
	s_or_b32 exec_lo, exec_lo, s69
.LBB0_10076:                            ;   in Loop: Header=BB0_7082 Depth=1
	s_and_not1_saveexec_b32 s68, s68
; %bb.10077:                            ;   in Loop: Header=BB0_7082 Depth=1
	s_delay_alu instid0(VALU_DEP_1)
	v_add_nc_u32_e32 v9, 0x7c000000, v9
; %bb.10078:                            ;   in Loop: Header=BB0_7082 Depth=1
	s_or_b32 exec_lo, exec_lo, s68
	v_mov_b32_e32 v0, s62
	v_add3_u32 v11, v10, s63, 0x18000
	v_mov_b32_e32 v8, 0x7c
	s_mov_b32 s68, exec_lo
	ds_load_2addr_b64 v[12:15], v0 offset0:84 offset1:85
	ds_load_b64 v[16:17], v0 offset:688
	global_store_b32 v11, v9, s[34:35] scale_offset
	s_wait_dscnt 0x1
	v_mul_f64_e32 v[0:1], v[4:5], v[14:15]
	s_delay_alu instid0(VALU_DEP_1) | instskip(SKIP_1) | instid1(VALU_DEP_1)
	v_fmac_f64_e32 v[0:1], v[2:3], v[12:13]
	s_wait_dscnt 0x0
	v_fmac_f64_e32 v[0:1], v[6:7], v[16:17]
	s_wait_xcnt 0x0
	s_delay_alu instid0(VALU_DEP_1)
	v_cmpx_ngt_f64_e32 s[60:61], v[0:1]
	s_cbranch_execz .LBB0_10140
; %bb.10079:                            ;   in Loop: Header=BB0_7082 Depth=1
	v_mov_b32_e32 v8, 0x78
	s_mov_b32 s69, exec_lo
	v_cmpx_ngt_f64_e32 s[66:67], v[0:1]
	s_cbranch_execz .LBB0_10139
; %bb.10080:                            ;   in Loop: Header=BB0_7082 Depth=1
	v_mov_b32_e32 v8, 0x74
	s_mov_b32 s70, exec_lo
	;; [unrolled: 5-line block ×30, first 2 shown]
	v_cmpx_gt_f64_e32 s[36:37], v[0:1]
; %bb.10109:                            ;   in Loop: Header=BB0_7082 Depth=1
	v_mov_b32_e32 v8, 4
; %bb.10110:                            ;   in Loop: Header=BB0_7082 Depth=1
	s_or_b32 exec_lo, exec_lo, s98
.LBB0_10111:                            ;   in Loop: Header=BB0_7082 Depth=1
	s_delay_alu instid0(SALU_CYCLE_1)
	s_or_b32 exec_lo, exec_lo, s97
.LBB0_10112:                            ;   in Loop: Header=BB0_7082 Depth=1
	s_delay_alu instid0(SALU_CYCLE_1)
	s_or_b32 exec_lo, exec_lo, s96
.LBB0_10113:                            ;   in Loop: Header=BB0_7082 Depth=1
	s_delay_alu instid0(SALU_CYCLE_1)
	s_or_b32 exec_lo, exec_lo, s95
.LBB0_10114:                            ;   in Loop: Header=BB0_7082 Depth=1
	s_delay_alu instid0(SALU_CYCLE_1)
	s_or_b32 exec_lo, exec_lo, s94
.LBB0_10115:                            ;   in Loop: Header=BB0_7082 Depth=1
	s_delay_alu instid0(SALU_CYCLE_1)
	s_or_b32 exec_lo, exec_lo, s93
.LBB0_10116:                            ;   in Loop: Header=BB0_7082 Depth=1
	s_delay_alu instid0(SALU_CYCLE_1)
	s_or_b32 exec_lo, exec_lo, s92
.LBB0_10117:                            ;   in Loop: Header=BB0_7082 Depth=1
	s_delay_alu instid0(SALU_CYCLE_1)
	s_or_b32 exec_lo, exec_lo, s91
.LBB0_10118:                            ;   in Loop: Header=BB0_7082 Depth=1
	s_delay_alu instid0(SALU_CYCLE_1)
	s_or_b32 exec_lo, exec_lo, s90
.LBB0_10119:                            ;   in Loop: Header=BB0_7082 Depth=1
	s_delay_alu instid0(SALU_CYCLE_1)
	s_or_b32 exec_lo, exec_lo, s89
.LBB0_10120:                            ;   in Loop: Header=BB0_7082 Depth=1
	s_delay_alu instid0(SALU_CYCLE_1)
	s_or_b32 exec_lo, exec_lo, s88
.LBB0_10121:                            ;   in Loop: Header=BB0_7082 Depth=1
	s_delay_alu instid0(SALU_CYCLE_1)
	s_or_b32 exec_lo, exec_lo, s87
.LBB0_10122:                            ;   in Loop: Header=BB0_7082 Depth=1
	s_delay_alu instid0(SALU_CYCLE_1)
	s_or_b32 exec_lo, exec_lo, s86
.LBB0_10123:                            ;   in Loop: Header=BB0_7082 Depth=1
	s_delay_alu instid0(SALU_CYCLE_1)
	s_or_b32 exec_lo, exec_lo, s85
.LBB0_10124:                            ;   in Loop: Header=BB0_7082 Depth=1
	s_delay_alu instid0(SALU_CYCLE_1)
	s_or_b32 exec_lo, exec_lo, s84
.LBB0_10125:                            ;   in Loop: Header=BB0_7082 Depth=1
	s_delay_alu instid0(SALU_CYCLE_1)
	s_or_b32 exec_lo, exec_lo, s83
.LBB0_10126:                            ;   in Loop: Header=BB0_7082 Depth=1
	s_delay_alu instid0(SALU_CYCLE_1)
	s_or_b32 exec_lo, exec_lo, s82
.LBB0_10127:                            ;   in Loop: Header=BB0_7082 Depth=1
	s_delay_alu instid0(SALU_CYCLE_1)
	s_or_b32 exec_lo, exec_lo, s81
.LBB0_10128:                            ;   in Loop: Header=BB0_7082 Depth=1
	s_delay_alu instid0(SALU_CYCLE_1)
	s_or_b32 exec_lo, exec_lo, s80
.LBB0_10129:                            ;   in Loop: Header=BB0_7082 Depth=1
	s_delay_alu instid0(SALU_CYCLE_1)
	s_or_b32 exec_lo, exec_lo, s79
.LBB0_10130:                            ;   in Loop: Header=BB0_7082 Depth=1
	s_delay_alu instid0(SALU_CYCLE_1)
	s_or_b32 exec_lo, exec_lo, s78
.LBB0_10131:                            ;   in Loop: Header=BB0_7082 Depth=1
	s_delay_alu instid0(SALU_CYCLE_1)
	s_or_b32 exec_lo, exec_lo, s77
.LBB0_10132:                            ;   in Loop: Header=BB0_7082 Depth=1
	s_delay_alu instid0(SALU_CYCLE_1)
	s_or_b32 exec_lo, exec_lo, s76
.LBB0_10133:                            ;   in Loop: Header=BB0_7082 Depth=1
	s_delay_alu instid0(SALU_CYCLE_1)
	s_or_b32 exec_lo, exec_lo, s75
.LBB0_10134:                            ;   in Loop: Header=BB0_7082 Depth=1
	s_delay_alu instid0(SALU_CYCLE_1)
	s_or_b32 exec_lo, exec_lo, s74
.LBB0_10135:                            ;   in Loop: Header=BB0_7082 Depth=1
	s_delay_alu instid0(SALU_CYCLE_1)
	s_or_b32 exec_lo, exec_lo, s73
.LBB0_10136:                            ;   in Loop: Header=BB0_7082 Depth=1
	s_delay_alu instid0(SALU_CYCLE_1)
	s_or_b32 exec_lo, exec_lo, s72
.LBB0_10137:                            ;   in Loop: Header=BB0_7082 Depth=1
	s_delay_alu instid0(SALU_CYCLE_1)
	s_or_b32 exec_lo, exec_lo, s71
.LBB0_10138:                            ;   in Loop: Header=BB0_7082 Depth=1
	s_delay_alu instid0(SALU_CYCLE_1)
	s_or_b32 exec_lo, exec_lo, s70
.LBB0_10139:                            ;   in Loop: Header=BB0_7082 Depth=1
	s_delay_alu instid0(SALU_CYCLE_1)
	s_or_b32 exec_lo, exec_lo, s69
.LBB0_10140:                            ;   in Loop: Header=BB0_7082 Depth=1
	s_delay_alu instid0(SALU_CYCLE_1)
	s_or_b32 exec_lo, exec_lo, s68
	v_mov_b32_e32 v0, s62
	s_mov_b32 s68, exec_lo
	ds_load_2addr_b64 v[12:15], v0 offset0:87 offset1:88
	ds_load_b64 v[16:17], v0 offset:712
	s_wait_dscnt 0x1
	v_mul_f64_e32 v[0:1], v[4:5], v[14:15]
	s_delay_alu instid0(VALU_DEP_1) | instskip(SKIP_1) | instid1(VALU_DEP_1)
	v_fmac_f64_e32 v[0:1], v[2:3], v[12:13]
	s_wait_dscnt 0x0
	v_fmac_f64_e32 v[0:1], v[6:7], v[16:17]
	s_delay_alu instid0(VALU_DEP_1)
	v_cmpx_ngt_f64_e32 s[60:61], v[0:1]
	s_xor_b32 s68, exec_lo, s68
	s_cbranch_execz .LBB0_10260
; %bb.10141:                            ;   in Loop: Header=BB0_7082 Depth=1
	s_mov_b32 s69, exec_lo
	v_cmpx_ngt_f64_e32 s[66:67], v[0:1]
	s_xor_b32 s69, exec_lo, s69
	s_cbranch_execz .LBB0_10257
; %bb.10142:                            ;   in Loop: Header=BB0_7082 Depth=1
	s_mov_b32 s70, exec_lo
	;; [unrolled: 5-line block ×30, first 2 shown]
	v_cmpx_gt_f64_e32 s[36:37], v[0:1]
; %bb.10171:                            ;   in Loop: Header=BB0_7082 Depth=1
	v_or_b32_e32 v8, 0x400, v8
; %bb.10172:                            ;   in Loop: Header=BB0_7082 Depth=1
	s_or_b32 exec_lo, exec_lo, s98
.LBB0_10173:                            ;   in Loop: Header=BB0_7082 Depth=1
	s_and_not1_saveexec_b32 s97, s97
; %bb.10174:                            ;   in Loop: Header=BB0_7082 Depth=1
	s_delay_alu instid0(VALU_DEP_1)
	v_or_b32_e32 v8, 0x800, v8
; %bb.10175:                            ;   in Loop: Header=BB0_7082 Depth=1
	s_or_b32 exec_lo, exec_lo, s97
.LBB0_10176:                            ;   in Loop: Header=BB0_7082 Depth=1
	s_and_not1_saveexec_b32 s96, s96
; %bb.10177:                            ;   in Loop: Header=BB0_7082 Depth=1
	s_delay_alu instid0(VALU_DEP_1)
	v_or_b32_e32 v8, 0xc00, v8
; %bb.10178:                            ;   in Loop: Header=BB0_7082 Depth=1
	s_or_b32 exec_lo, exec_lo, s96
.LBB0_10179:                            ;   in Loop: Header=BB0_7082 Depth=1
	s_and_not1_saveexec_b32 s95, s95
; %bb.10180:                            ;   in Loop: Header=BB0_7082 Depth=1
	s_delay_alu instid0(VALU_DEP_1)
	v_or_b32_e32 v8, 0x1000, v8
; %bb.10181:                            ;   in Loop: Header=BB0_7082 Depth=1
	s_or_b32 exec_lo, exec_lo, s95
.LBB0_10182:                            ;   in Loop: Header=BB0_7082 Depth=1
	s_and_not1_saveexec_b32 s94, s94
; %bb.10183:                            ;   in Loop: Header=BB0_7082 Depth=1
	s_delay_alu instid0(VALU_DEP_1)
	v_or_b32_e32 v8, 0x1400, v8
; %bb.10184:                            ;   in Loop: Header=BB0_7082 Depth=1
	s_or_b32 exec_lo, exec_lo, s94
.LBB0_10185:                            ;   in Loop: Header=BB0_7082 Depth=1
	s_and_not1_saveexec_b32 s93, s93
; %bb.10186:                            ;   in Loop: Header=BB0_7082 Depth=1
	s_delay_alu instid0(VALU_DEP_1)
	v_or_b32_e32 v8, 0x1800, v8
; %bb.10187:                            ;   in Loop: Header=BB0_7082 Depth=1
	s_or_b32 exec_lo, exec_lo, s93
.LBB0_10188:                            ;   in Loop: Header=BB0_7082 Depth=1
	s_and_not1_saveexec_b32 s92, s92
; %bb.10189:                            ;   in Loop: Header=BB0_7082 Depth=1
	s_delay_alu instid0(VALU_DEP_1)
	v_or_b32_e32 v8, 0x1c00, v8
; %bb.10190:                            ;   in Loop: Header=BB0_7082 Depth=1
	s_or_b32 exec_lo, exec_lo, s92
.LBB0_10191:                            ;   in Loop: Header=BB0_7082 Depth=1
	s_and_not1_saveexec_b32 s91, s91
; %bb.10192:                            ;   in Loop: Header=BB0_7082 Depth=1
	s_delay_alu instid0(VALU_DEP_1)
	v_or_b32_e32 v8, 0x2000, v8
; %bb.10193:                            ;   in Loop: Header=BB0_7082 Depth=1
	s_or_b32 exec_lo, exec_lo, s91
.LBB0_10194:                            ;   in Loop: Header=BB0_7082 Depth=1
	s_and_not1_saveexec_b32 s90, s90
; %bb.10195:                            ;   in Loop: Header=BB0_7082 Depth=1
	s_delay_alu instid0(VALU_DEP_1)
	v_or_b32_e32 v8, 0x2400, v8
; %bb.10196:                            ;   in Loop: Header=BB0_7082 Depth=1
	s_or_b32 exec_lo, exec_lo, s90
.LBB0_10197:                            ;   in Loop: Header=BB0_7082 Depth=1
	s_and_not1_saveexec_b32 s89, s89
; %bb.10198:                            ;   in Loop: Header=BB0_7082 Depth=1
	s_delay_alu instid0(VALU_DEP_1)
	v_or_b32_e32 v8, 0x2800, v8
; %bb.10199:                            ;   in Loop: Header=BB0_7082 Depth=1
	s_or_b32 exec_lo, exec_lo, s89
.LBB0_10200:                            ;   in Loop: Header=BB0_7082 Depth=1
	s_and_not1_saveexec_b32 s88, s88
; %bb.10201:                            ;   in Loop: Header=BB0_7082 Depth=1
	s_delay_alu instid0(VALU_DEP_1)
	v_or_b32_e32 v8, 0x2c00, v8
; %bb.10202:                            ;   in Loop: Header=BB0_7082 Depth=1
	s_or_b32 exec_lo, exec_lo, s88
.LBB0_10203:                            ;   in Loop: Header=BB0_7082 Depth=1
	s_and_not1_saveexec_b32 s87, s87
; %bb.10204:                            ;   in Loop: Header=BB0_7082 Depth=1
	s_delay_alu instid0(VALU_DEP_1)
	v_or_b32_e32 v8, 0x3000, v8
; %bb.10205:                            ;   in Loop: Header=BB0_7082 Depth=1
	s_or_b32 exec_lo, exec_lo, s87
.LBB0_10206:                            ;   in Loop: Header=BB0_7082 Depth=1
	s_and_not1_saveexec_b32 s86, s86
; %bb.10207:                            ;   in Loop: Header=BB0_7082 Depth=1
	s_delay_alu instid0(VALU_DEP_1)
	v_or_b32_e32 v8, 0x3400, v8
; %bb.10208:                            ;   in Loop: Header=BB0_7082 Depth=1
	s_or_b32 exec_lo, exec_lo, s86
.LBB0_10209:                            ;   in Loop: Header=BB0_7082 Depth=1
	s_and_not1_saveexec_b32 s85, s85
; %bb.10210:                            ;   in Loop: Header=BB0_7082 Depth=1
	s_delay_alu instid0(VALU_DEP_1)
	v_or_b32_e32 v8, 0x3800, v8
; %bb.10211:                            ;   in Loop: Header=BB0_7082 Depth=1
	s_or_b32 exec_lo, exec_lo, s85
.LBB0_10212:                            ;   in Loop: Header=BB0_7082 Depth=1
	s_and_not1_saveexec_b32 s84, s84
; %bb.10213:                            ;   in Loop: Header=BB0_7082 Depth=1
	s_delay_alu instid0(VALU_DEP_1)
	v_or_b32_e32 v8, 0x3c00, v8
; %bb.10214:                            ;   in Loop: Header=BB0_7082 Depth=1
	s_or_b32 exec_lo, exec_lo, s84
.LBB0_10215:                            ;   in Loop: Header=BB0_7082 Depth=1
	s_and_not1_saveexec_b32 s83, s83
; %bb.10216:                            ;   in Loop: Header=BB0_7082 Depth=1
	s_delay_alu instid0(VALU_DEP_1)
	v_or_b32_e32 v8, 0x4000, v8
; %bb.10217:                            ;   in Loop: Header=BB0_7082 Depth=1
	s_or_b32 exec_lo, exec_lo, s83
.LBB0_10218:                            ;   in Loop: Header=BB0_7082 Depth=1
	s_and_not1_saveexec_b32 s82, s82
; %bb.10219:                            ;   in Loop: Header=BB0_7082 Depth=1
	s_delay_alu instid0(VALU_DEP_1)
	v_or_b32_e32 v8, 0x4400, v8
; %bb.10220:                            ;   in Loop: Header=BB0_7082 Depth=1
	s_or_b32 exec_lo, exec_lo, s82
.LBB0_10221:                            ;   in Loop: Header=BB0_7082 Depth=1
	s_and_not1_saveexec_b32 s81, s81
; %bb.10222:                            ;   in Loop: Header=BB0_7082 Depth=1
	s_delay_alu instid0(VALU_DEP_1)
	v_or_b32_e32 v8, 0x4800, v8
; %bb.10223:                            ;   in Loop: Header=BB0_7082 Depth=1
	s_or_b32 exec_lo, exec_lo, s81
.LBB0_10224:                            ;   in Loop: Header=BB0_7082 Depth=1
	s_and_not1_saveexec_b32 s80, s80
; %bb.10225:                            ;   in Loop: Header=BB0_7082 Depth=1
	s_delay_alu instid0(VALU_DEP_1)
	v_or_b32_e32 v8, 0x4c00, v8
; %bb.10226:                            ;   in Loop: Header=BB0_7082 Depth=1
	s_or_b32 exec_lo, exec_lo, s80
.LBB0_10227:                            ;   in Loop: Header=BB0_7082 Depth=1
	s_and_not1_saveexec_b32 s79, s79
; %bb.10228:                            ;   in Loop: Header=BB0_7082 Depth=1
	s_delay_alu instid0(VALU_DEP_1)
	v_or_b32_e32 v8, 0x5000, v8
; %bb.10229:                            ;   in Loop: Header=BB0_7082 Depth=1
	s_or_b32 exec_lo, exec_lo, s79
.LBB0_10230:                            ;   in Loop: Header=BB0_7082 Depth=1
	s_and_not1_saveexec_b32 s78, s78
; %bb.10231:                            ;   in Loop: Header=BB0_7082 Depth=1
	s_delay_alu instid0(VALU_DEP_1)
	v_or_b32_e32 v8, 0x5400, v8
; %bb.10232:                            ;   in Loop: Header=BB0_7082 Depth=1
	s_or_b32 exec_lo, exec_lo, s78
.LBB0_10233:                            ;   in Loop: Header=BB0_7082 Depth=1
	s_and_not1_saveexec_b32 s77, s77
; %bb.10234:                            ;   in Loop: Header=BB0_7082 Depth=1
	s_delay_alu instid0(VALU_DEP_1)
	v_or_b32_e32 v8, 0x5800, v8
; %bb.10235:                            ;   in Loop: Header=BB0_7082 Depth=1
	s_or_b32 exec_lo, exec_lo, s77
.LBB0_10236:                            ;   in Loop: Header=BB0_7082 Depth=1
	s_and_not1_saveexec_b32 s76, s76
; %bb.10237:                            ;   in Loop: Header=BB0_7082 Depth=1
	s_delay_alu instid0(VALU_DEP_1)
	v_or_b32_e32 v8, 0x5c00, v8
; %bb.10238:                            ;   in Loop: Header=BB0_7082 Depth=1
	s_or_b32 exec_lo, exec_lo, s76
.LBB0_10239:                            ;   in Loop: Header=BB0_7082 Depth=1
	s_and_not1_saveexec_b32 s75, s75
; %bb.10240:                            ;   in Loop: Header=BB0_7082 Depth=1
	s_delay_alu instid0(VALU_DEP_1)
	v_or_b32_e32 v8, 0x6000, v8
; %bb.10241:                            ;   in Loop: Header=BB0_7082 Depth=1
	s_or_b32 exec_lo, exec_lo, s75
.LBB0_10242:                            ;   in Loop: Header=BB0_7082 Depth=1
	s_and_not1_saveexec_b32 s74, s74
; %bb.10243:                            ;   in Loop: Header=BB0_7082 Depth=1
	s_delay_alu instid0(VALU_DEP_1)
	v_or_b32_e32 v8, 0x6400, v8
; %bb.10244:                            ;   in Loop: Header=BB0_7082 Depth=1
	s_or_b32 exec_lo, exec_lo, s74
.LBB0_10245:                            ;   in Loop: Header=BB0_7082 Depth=1
	s_and_not1_saveexec_b32 s73, s73
; %bb.10246:                            ;   in Loop: Header=BB0_7082 Depth=1
	s_delay_alu instid0(VALU_DEP_1)
	v_or_b32_e32 v8, 0x6800, v8
; %bb.10247:                            ;   in Loop: Header=BB0_7082 Depth=1
	s_or_b32 exec_lo, exec_lo, s73
.LBB0_10248:                            ;   in Loop: Header=BB0_7082 Depth=1
	s_and_not1_saveexec_b32 s72, s72
; %bb.10249:                            ;   in Loop: Header=BB0_7082 Depth=1
	s_delay_alu instid0(VALU_DEP_1)
	v_or_b32_e32 v8, 0x6c00, v8
; %bb.10250:                            ;   in Loop: Header=BB0_7082 Depth=1
	s_or_b32 exec_lo, exec_lo, s72
.LBB0_10251:                            ;   in Loop: Header=BB0_7082 Depth=1
	s_and_not1_saveexec_b32 s71, s71
; %bb.10252:                            ;   in Loop: Header=BB0_7082 Depth=1
	s_delay_alu instid0(VALU_DEP_1)
	v_or_b32_e32 v8, 0x7000, v8
; %bb.10253:                            ;   in Loop: Header=BB0_7082 Depth=1
	s_or_b32 exec_lo, exec_lo, s71
.LBB0_10254:                            ;   in Loop: Header=BB0_7082 Depth=1
	s_and_not1_saveexec_b32 s70, s70
; %bb.10255:                            ;   in Loop: Header=BB0_7082 Depth=1
	s_delay_alu instid0(VALU_DEP_1)
	v_or_b32_e32 v8, 0x7400, v8
; %bb.10256:                            ;   in Loop: Header=BB0_7082 Depth=1
	s_or_b32 exec_lo, exec_lo, s70
.LBB0_10257:                            ;   in Loop: Header=BB0_7082 Depth=1
	s_and_not1_saveexec_b32 s69, s69
; %bb.10258:                            ;   in Loop: Header=BB0_7082 Depth=1
	s_delay_alu instid0(VALU_DEP_1)
	v_or_b32_e32 v8, 0x7800, v8
; %bb.10259:                            ;   in Loop: Header=BB0_7082 Depth=1
	s_or_b32 exec_lo, exec_lo, s69
.LBB0_10260:                            ;   in Loop: Header=BB0_7082 Depth=1
	s_and_not1_saveexec_b32 s68, s68
; %bb.10261:                            ;   in Loop: Header=BB0_7082 Depth=1
	s_delay_alu instid0(VALU_DEP_1)
	v_or_b32_e32 v8, 0x7c00, v8
; %bb.10262:                            ;   in Loop: Header=BB0_7082 Depth=1
	s_or_b32 exec_lo, exec_lo, s68
	v_mov_b32_e32 v0, s62
	s_mov_b32 s68, exec_lo
	ds_load_2addr_b64 v[12:15], v0 offset0:90 offset1:91
	ds_load_b64 v[16:17], v0 offset:736
	s_wait_dscnt 0x1
	v_mul_f64_e32 v[0:1], v[4:5], v[14:15]
	s_delay_alu instid0(VALU_DEP_1) | instskip(SKIP_1) | instid1(VALU_DEP_1)
	v_fmac_f64_e32 v[0:1], v[2:3], v[12:13]
	s_wait_dscnt 0x0
	v_fmac_f64_e32 v[0:1], v[6:7], v[16:17]
	s_delay_alu instid0(VALU_DEP_1)
	v_cmpx_ngt_f64_e32 s[60:61], v[0:1]
	s_xor_b32 s68, exec_lo, s68
	s_cbranch_execz .LBB0_10382
; %bb.10263:                            ;   in Loop: Header=BB0_7082 Depth=1
	s_mov_b32 s69, exec_lo
	v_cmpx_ngt_f64_e32 s[66:67], v[0:1]
	s_xor_b32 s69, exec_lo, s69
	s_cbranch_execz .LBB0_10379
; %bb.10264:                            ;   in Loop: Header=BB0_7082 Depth=1
	s_mov_b32 s70, exec_lo
	;; [unrolled: 5-line block ×30, first 2 shown]
	v_cmpx_gt_f64_e32 s[36:37], v[0:1]
; %bb.10293:                            ;   in Loop: Header=BB0_7082 Depth=1
	v_add_nc_u32_e32 v8, 0x40000, v8
; %bb.10294:                            ;   in Loop: Header=BB0_7082 Depth=1
	s_or_b32 exec_lo, exec_lo, s98
.LBB0_10295:                            ;   in Loop: Header=BB0_7082 Depth=1
	s_and_not1_saveexec_b32 s97, s97
; %bb.10296:                            ;   in Loop: Header=BB0_7082 Depth=1
	s_delay_alu instid0(VALU_DEP_1)
	v_add_nc_u32_e32 v8, 0x80000, v8
; %bb.10297:                            ;   in Loop: Header=BB0_7082 Depth=1
	s_or_b32 exec_lo, exec_lo, s97
.LBB0_10298:                            ;   in Loop: Header=BB0_7082 Depth=1
	s_and_not1_saveexec_b32 s96, s96
; %bb.10299:                            ;   in Loop: Header=BB0_7082 Depth=1
	s_delay_alu instid0(VALU_DEP_1)
	v_add_nc_u32_e32 v8, 0xc0000, v8
; %bb.10300:                            ;   in Loop: Header=BB0_7082 Depth=1
	s_or_b32 exec_lo, exec_lo, s96
.LBB0_10301:                            ;   in Loop: Header=BB0_7082 Depth=1
	s_and_not1_saveexec_b32 s95, s95
; %bb.10302:                            ;   in Loop: Header=BB0_7082 Depth=1
	s_delay_alu instid0(VALU_DEP_1)
	v_add_nc_u32_e32 v8, 0x100000, v8
; %bb.10303:                            ;   in Loop: Header=BB0_7082 Depth=1
	s_or_b32 exec_lo, exec_lo, s95
.LBB0_10304:                            ;   in Loop: Header=BB0_7082 Depth=1
	s_and_not1_saveexec_b32 s94, s94
; %bb.10305:                            ;   in Loop: Header=BB0_7082 Depth=1
	s_delay_alu instid0(VALU_DEP_1)
	v_add_nc_u32_e32 v8, 0x140000, v8
; %bb.10306:                            ;   in Loop: Header=BB0_7082 Depth=1
	s_or_b32 exec_lo, exec_lo, s94
.LBB0_10307:                            ;   in Loop: Header=BB0_7082 Depth=1
	s_and_not1_saveexec_b32 s93, s93
; %bb.10308:                            ;   in Loop: Header=BB0_7082 Depth=1
	s_delay_alu instid0(VALU_DEP_1)
	v_add_nc_u32_e32 v8, 0x180000, v8
; %bb.10309:                            ;   in Loop: Header=BB0_7082 Depth=1
	s_or_b32 exec_lo, exec_lo, s93
.LBB0_10310:                            ;   in Loop: Header=BB0_7082 Depth=1
	s_and_not1_saveexec_b32 s92, s92
; %bb.10311:                            ;   in Loop: Header=BB0_7082 Depth=1
	s_delay_alu instid0(VALU_DEP_1)
	v_add_nc_u32_e32 v8, 0x1c0000, v8
; %bb.10312:                            ;   in Loop: Header=BB0_7082 Depth=1
	s_or_b32 exec_lo, exec_lo, s92
.LBB0_10313:                            ;   in Loop: Header=BB0_7082 Depth=1
	s_and_not1_saveexec_b32 s91, s91
; %bb.10314:                            ;   in Loop: Header=BB0_7082 Depth=1
	s_delay_alu instid0(VALU_DEP_1)
	v_add_nc_u32_e32 v8, 0x200000, v8
; %bb.10315:                            ;   in Loop: Header=BB0_7082 Depth=1
	s_or_b32 exec_lo, exec_lo, s91
.LBB0_10316:                            ;   in Loop: Header=BB0_7082 Depth=1
	s_and_not1_saveexec_b32 s90, s90
; %bb.10317:                            ;   in Loop: Header=BB0_7082 Depth=1
	s_delay_alu instid0(VALU_DEP_1)
	v_add_nc_u32_e32 v8, 0x240000, v8
; %bb.10318:                            ;   in Loop: Header=BB0_7082 Depth=1
	s_or_b32 exec_lo, exec_lo, s90
.LBB0_10319:                            ;   in Loop: Header=BB0_7082 Depth=1
	s_and_not1_saveexec_b32 s89, s89
; %bb.10320:                            ;   in Loop: Header=BB0_7082 Depth=1
	s_delay_alu instid0(VALU_DEP_1)
	v_add_nc_u32_e32 v8, 0x280000, v8
; %bb.10321:                            ;   in Loop: Header=BB0_7082 Depth=1
	s_or_b32 exec_lo, exec_lo, s89
.LBB0_10322:                            ;   in Loop: Header=BB0_7082 Depth=1
	s_and_not1_saveexec_b32 s88, s88
; %bb.10323:                            ;   in Loop: Header=BB0_7082 Depth=1
	s_delay_alu instid0(VALU_DEP_1)
	v_add_nc_u32_e32 v8, 0x2c0000, v8
; %bb.10324:                            ;   in Loop: Header=BB0_7082 Depth=1
	s_or_b32 exec_lo, exec_lo, s88
.LBB0_10325:                            ;   in Loop: Header=BB0_7082 Depth=1
	s_and_not1_saveexec_b32 s87, s87
; %bb.10326:                            ;   in Loop: Header=BB0_7082 Depth=1
	s_delay_alu instid0(VALU_DEP_1)
	v_add_nc_u32_e32 v8, 0x300000, v8
; %bb.10327:                            ;   in Loop: Header=BB0_7082 Depth=1
	s_or_b32 exec_lo, exec_lo, s87
.LBB0_10328:                            ;   in Loop: Header=BB0_7082 Depth=1
	s_and_not1_saveexec_b32 s86, s86
; %bb.10329:                            ;   in Loop: Header=BB0_7082 Depth=1
	s_delay_alu instid0(VALU_DEP_1)
	v_add_nc_u32_e32 v8, 0x340000, v8
; %bb.10330:                            ;   in Loop: Header=BB0_7082 Depth=1
	s_or_b32 exec_lo, exec_lo, s86
.LBB0_10331:                            ;   in Loop: Header=BB0_7082 Depth=1
	s_and_not1_saveexec_b32 s85, s85
; %bb.10332:                            ;   in Loop: Header=BB0_7082 Depth=1
	s_delay_alu instid0(VALU_DEP_1)
	v_add_nc_u32_e32 v8, 0x380000, v8
; %bb.10333:                            ;   in Loop: Header=BB0_7082 Depth=1
	s_or_b32 exec_lo, exec_lo, s85
.LBB0_10334:                            ;   in Loop: Header=BB0_7082 Depth=1
	s_and_not1_saveexec_b32 s84, s84
; %bb.10335:                            ;   in Loop: Header=BB0_7082 Depth=1
	s_delay_alu instid0(VALU_DEP_1)
	v_add_nc_u32_e32 v8, 0x3c0000, v8
; %bb.10336:                            ;   in Loop: Header=BB0_7082 Depth=1
	s_or_b32 exec_lo, exec_lo, s84
.LBB0_10337:                            ;   in Loop: Header=BB0_7082 Depth=1
	s_and_not1_saveexec_b32 s83, s83
; %bb.10338:                            ;   in Loop: Header=BB0_7082 Depth=1
	s_delay_alu instid0(VALU_DEP_1)
	v_add_nc_u32_e32 v8, 0x400000, v8
; %bb.10339:                            ;   in Loop: Header=BB0_7082 Depth=1
	s_or_b32 exec_lo, exec_lo, s83
.LBB0_10340:                            ;   in Loop: Header=BB0_7082 Depth=1
	s_and_not1_saveexec_b32 s82, s82
; %bb.10341:                            ;   in Loop: Header=BB0_7082 Depth=1
	s_delay_alu instid0(VALU_DEP_1)
	v_add_nc_u32_e32 v8, 0x440000, v8
; %bb.10342:                            ;   in Loop: Header=BB0_7082 Depth=1
	s_or_b32 exec_lo, exec_lo, s82
.LBB0_10343:                            ;   in Loop: Header=BB0_7082 Depth=1
	s_and_not1_saveexec_b32 s81, s81
; %bb.10344:                            ;   in Loop: Header=BB0_7082 Depth=1
	s_delay_alu instid0(VALU_DEP_1)
	v_add_nc_u32_e32 v8, 0x480000, v8
; %bb.10345:                            ;   in Loop: Header=BB0_7082 Depth=1
	s_or_b32 exec_lo, exec_lo, s81
.LBB0_10346:                            ;   in Loop: Header=BB0_7082 Depth=1
	s_and_not1_saveexec_b32 s80, s80
; %bb.10347:                            ;   in Loop: Header=BB0_7082 Depth=1
	s_delay_alu instid0(VALU_DEP_1)
	v_add_nc_u32_e32 v8, 0x4c0000, v8
; %bb.10348:                            ;   in Loop: Header=BB0_7082 Depth=1
	s_or_b32 exec_lo, exec_lo, s80
.LBB0_10349:                            ;   in Loop: Header=BB0_7082 Depth=1
	s_and_not1_saveexec_b32 s79, s79
; %bb.10350:                            ;   in Loop: Header=BB0_7082 Depth=1
	s_delay_alu instid0(VALU_DEP_1)
	v_add_nc_u32_e32 v8, 0x500000, v8
; %bb.10351:                            ;   in Loop: Header=BB0_7082 Depth=1
	s_or_b32 exec_lo, exec_lo, s79
.LBB0_10352:                            ;   in Loop: Header=BB0_7082 Depth=1
	s_and_not1_saveexec_b32 s78, s78
; %bb.10353:                            ;   in Loop: Header=BB0_7082 Depth=1
	s_delay_alu instid0(VALU_DEP_1)
	v_add_nc_u32_e32 v8, 0x540000, v8
; %bb.10354:                            ;   in Loop: Header=BB0_7082 Depth=1
	s_or_b32 exec_lo, exec_lo, s78
.LBB0_10355:                            ;   in Loop: Header=BB0_7082 Depth=1
	s_and_not1_saveexec_b32 s77, s77
; %bb.10356:                            ;   in Loop: Header=BB0_7082 Depth=1
	s_delay_alu instid0(VALU_DEP_1)
	v_add_nc_u32_e32 v8, 0x580000, v8
; %bb.10357:                            ;   in Loop: Header=BB0_7082 Depth=1
	s_or_b32 exec_lo, exec_lo, s77
.LBB0_10358:                            ;   in Loop: Header=BB0_7082 Depth=1
	s_and_not1_saveexec_b32 s76, s76
; %bb.10359:                            ;   in Loop: Header=BB0_7082 Depth=1
	s_delay_alu instid0(VALU_DEP_1)
	v_add_nc_u32_e32 v8, 0x5c0000, v8
; %bb.10360:                            ;   in Loop: Header=BB0_7082 Depth=1
	s_or_b32 exec_lo, exec_lo, s76
.LBB0_10361:                            ;   in Loop: Header=BB0_7082 Depth=1
	s_and_not1_saveexec_b32 s75, s75
; %bb.10362:                            ;   in Loop: Header=BB0_7082 Depth=1
	s_delay_alu instid0(VALU_DEP_1)
	v_add_nc_u32_e32 v8, 0x600000, v8
; %bb.10363:                            ;   in Loop: Header=BB0_7082 Depth=1
	s_or_b32 exec_lo, exec_lo, s75
.LBB0_10364:                            ;   in Loop: Header=BB0_7082 Depth=1
	s_and_not1_saveexec_b32 s74, s74
; %bb.10365:                            ;   in Loop: Header=BB0_7082 Depth=1
	s_delay_alu instid0(VALU_DEP_1)
	v_add_nc_u32_e32 v8, 0x640000, v8
; %bb.10366:                            ;   in Loop: Header=BB0_7082 Depth=1
	s_or_b32 exec_lo, exec_lo, s74
.LBB0_10367:                            ;   in Loop: Header=BB0_7082 Depth=1
	s_and_not1_saveexec_b32 s73, s73
; %bb.10368:                            ;   in Loop: Header=BB0_7082 Depth=1
	s_delay_alu instid0(VALU_DEP_1)
	v_add_nc_u32_e32 v8, 0x680000, v8
; %bb.10369:                            ;   in Loop: Header=BB0_7082 Depth=1
	s_or_b32 exec_lo, exec_lo, s73
.LBB0_10370:                            ;   in Loop: Header=BB0_7082 Depth=1
	s_and_not1_saveexec_b32 s72, s72
; %bb.10371:                            ;   in Loop: Header=BB0_7082 Depth=1
	s_delay_alu instid0(VALU_DEP_1)
	v_add_nc_u32_e32 v8, 0x6c0000, v8
; %bb.10372:                            ;   in Loop: Header=BB0_7082 Depth=1
	s_or_b32 exec_lo, exec_lo, s72
.LBB0_10373:                            ;   in Loop: Header=BB0_7082 Depth=1
	s_and_not1_saveexec_b32 s71, s71
; %bb.10374:                            ;   in Loop: Header=BB0_7082 Depth=1
	s_delay_alu instid0(VALU_DEP_1)
	v_add_nc_u32_e32 v8, 0x700000, v8
; %bb.10375:                            ;   in Loop: Header=BB0_7082 Depth=1
	s_or_b32 exec_lo, exec_lo, s71
.LBB0_10376:                            ;   in Loop: Header=BB0_7082 Depth=1
	s_and_not1_saveexec_b32 s70, s70
; %bb.10377:                            ;   in Loop: Header=BB0_7082 Depth=1
	s_delay_alu instid0(VALU_DEP_1)
	v_add_nc_u32_e32 v8, 0x740000, v8
; %bb.10378:                            ;   in Loop: Header=BB0_7082 Depth=1
	s_or_b32 exec_lo, exec_lo, s70
.LBB0_10379:                            ;   in Loop: Header=BB0_7082 Depth=1
	s_and_not1_saveexec_b32 s69, s69
; %bb.10380:                            ;   in Loop: Header=BB0_7082 Depth=1
	s_delay_alu instid0(VALU_DEP_1)
	v_add_nc_u32_e32 v8, 0x780000, v8
; %bb.10381:                            ;   in Loop: Header=BB0_7082 Depth=1
	s_or_b32 exec_lo, exec_lo, s69
.LBB0_10382:                            ;   in Loop: Header=BB0_7082 Depth=1
	s_and_not1_saveexec_b32 s68, s68
; %bb.10383:                            ;   in Loop: Header=BB0_7082 Depth=1
	s_delay_alu instid0(VALU_DEP_1)
	v_add_nc_u32_e32 v8, 0x7c0000, v8
; %bb.10384:                            ;   in Loop: Header=BB0_7082 Depth=1
	s_or_b32 exec_lo, exec_lo, s68
	v_mov_b32_e32 v0, s62
	s_mov_b32 s68, exec_lo
	ds_load_2addr_b64 v[12:15], v0 offset0:93 offset1:94
	ds_load_b64 v[16:17], v0 offset:760
	s_wait_dscnt 0x1
	v_mul_f64_e32 v[0:1], v[4:5], v[14:15]
	s_delay_alu instid0(VALU_DEP_1) | instskip(SKIP_1) | instid1(VALU_DEP_1)
	v_fmac_f64_e32 v[0:1], v[2:3], v[12:13]
	s_wait_dscnt 0x0
	v_fmac_f64_e32 v[0:1], v[6:7], v[16:17]
	s_delay_alu instid0(VALU_DEP_1)
	v_cmpx_ngt_f64_e32 s[60:61], v[0:1]
	s_xor_b32 s68, exec_lo, s68
	s_cbranch_execz .LBB0_10504
; %bb.10385:                            ;   in Loop: Header=BB0_7082 Depth=1
	s_mov_b32 s69, exec_lo
	v_cmpx_ngt_f64_e32 s[66:67], v[0:1]
	s_xor_b32 s69, exec_lo, s69
	s_cbranch_execz .LBB0_10501
; %bb.10386:                            ;   in Loop: Header=BB0_7082 Depth=1
	s_mov_b32 s70, exec_lo
	;; [unrolled: 5-line block ×30, first 2 shown]
	v_cmpx_gt_f64_e32 s[36:37], v[0:1]
; %bb.10415:                            ;   in Loop: Header=BB0_7082 Depth=1
	v_add_nc_u32_e32 v8, 0x4000000, v8
; %bb.10416:                            ;   in Loop: Header=BB0_7082 Depth=1
	s_or_b32 exec_lo, exec_lo, s98
.LBB0_10417:                            ;   in Loop: Header=BB0_7082 Depth=1
	s_and_not1_saveexec_b32 s97, s97
; %bb.10418:                            ;   in Loop: Header=BB0_7082 Depth=1
	s_delay_alu instid0(VALU_DEP_1)
	v_add_nc_u32_e32 v8, 0x8000000, v8
; %bb.10419:                            ;   in Loop: Header=BB0_7082 Depth=1
	s_or_b32 exec_lo, exec_lo, s97
.LBB0_10420:                            ;   in Loop: Header=BB0_7082 Depth=1
	s_and_not1_saveexec_b32 s96, s96
; %bb.10421:                            ;   in Loop: Header=BB0_7082 Depth=1
	s_delay_alu instid0(VALU_DEP_1)
	v_add_nc_u32_e32 v8, 0xc000000, v8
; %bb.10422:                            ;   in Loop: Header=BB0_7082 Depth=1
	s_or_b32 exec_lo, exec_lo, s96
.LBB0_10423:                            ;   in Loop: Header=BB0_7082 Depth=1
	s_and_not1_saveexec_b32 s95, s95
; %bb.10424:                            ;   in Loop: Header=BB0_7082 Depth=1
	s_delay_alu instid0(VALU_DEP_1)
	v_add_nc_u32_e32 v8, 0x10000000, v8
; %bb.10425:                            ;   in Loop: Header=BB0_7082 Depth=1
	s_or_b32 exec_lo, exec_lo, s95
.LBB0_10426:                            ;   in Loop: Header=BB0_7082 Depth=1
	s_and_not1_saveexec_b32 s94, s94
; %bb.10427:                            ;   in Loop: Header=BB0_7082 Depth=1
	s_delay_alu instid0(VALU_DEP_1)
	v_add_nc_u32_e32 v8, 0x14000000, v8
; %bb.10428:                            ;   in Loop: Header=BB0_7082 Depth=1
	s_or_b32 exec_lo, exec_lo, s94
.LBB0_10429:                            ;   in Loop: Header=BB0_7082 Depth=1
	s_and_not1_saveexec_b32 s93, s93
; %bb.10430:                            ;   in Loop: Header=BB0_7082 Depth=1
	s_delay_alu instid0(VALU_DEP_1)
	v_add_nc_u32_e32 v8, 0x18000000, v8
; %bb.10431:                            ;   in Loop: Header=BB0_7082 Depth=1
	s_or_b32 exec_lo, exec_lo, s93
.LBB0_10432:                            ;   in Loop: Header=BB0_7082 Depth=1
	s_and_not1_saveexec_b32 s92, s92
; %bb.10433:                            ;   in Loop: Header=BB0_7082 Depth=1
	s_delay_alu instid0(VALU_DEP_1)
	v_add_nc_u32_e32 v8, 0x1c000000, v8
; %bb.10434:                            ;   in Loop: Header=BB0_7082 Depth=1
	s_or_b32 exec_lo, exec_lo, s92
.LBB0_10435:                            ;   in Loop: Header=BB0_7082 Depth=1
	s_and_not1_saveexec_b32 s91, s91
; %bb.10436:                            ;   in Loop: Header=BB0_7082 Depth=1
	s_delay_alu instid0(VALU_DEP_1)
	v_add_nc_u32_e32 v8, 0x20000000, v8
; %bb.10437:                            ;   in Loop: Header=BB0_7082 Depth=1
	s_or_b32 exec_lo, exec_lo, s91
.LBB0_10438:                            ;   in Loop: Header=BB0_7082 Depth=1
	s_and_not1_saveexec_b32 s90, s90
; %bb.10439:                            ;   in Loop: Header=BB0_7082 Depth=1
	s_delay_alu instid0(VALU_DEP_1)
	v_add_nc_u32_e32 v8, 0x24000000, v8
; %bb.10440:                            ;   in Loop: Header=BB0_7082 Depth=1
	s_or_b32 exec_lo, exec_lo, s90
.LBB0_10441:                            ;   in Loop: Header=BB0_7082 Depth=1
	s_and_not1_saveexec_b32 s89, s89
; %bb.10442:                            ;   in Loop: Header=BB0_7082 Depth=1
	s_delay_alu instid0(VALU_DEP_1)
	v_add_nc_u32_e32 v8, 0x28000000, v8
; %bb.10443:                            ;   in Loop: Header=BB0_7082 Depth=1
	s_or_b32 exec_lo, exec_lo, s89
.LBB0_10444:                            ;   in Loop: Header=BB0_7082 Depth=1
	s_and_not1_saveexec_b32 s88, s88
; %bb.10445:                            ;   in Loop: Header=BB0_7082 Depth=1
	s_delay_alu instid0(VALU_DEP_1)
	v_add_nc_u32_e32 v8, 0x2c000000, v8
; %bb.10446:                            ;   in Loop: Header=BB0_7082 Depth=1
	s_or_b32 exec_lo, exec_lo, s88
.LBB0_10447:                            ;   in Loop: Header=BB0_7082 Depth=1
	s_and_not1_saveexec_b32 s87, s87
; %bb.10448:                            ;   in Loop: Header=BB0_7082 Depth=1
	s_delay_alu instid0(VALU_DEP_1)
	v_add_nc_u32_e32 v8, 0x30000000, v8
; %bb.10449:                            ;   in Loop: Header=BB0_7082 Depth=1
	s_or_b32 exec_lo, exec_lo, s87
.LBB0_10450:                            ;   in Loop: Header=BB0_7082 Depth=1
	s_and_not1_saveexec_b32 s86, s86
; %bb.10451:                            ;   in Loop: Header=BB0_7082 Depth=1
	s_delay_alu instid0(VALU_DEP_1)
	v_add_nc_u32_e32 v8, 0x34000000, v8
; %bb.10452:                            ;   in Loop: Header=BB0_7082 Depth=1
	s_or_b32 exec_lo, exec_lo, s86
.LBB0_10453:                            ;   in Loop: Header=BB0_7082 Depth=1
	s_and_not1_saveexec_b32 s85, s85
; %bb.10454:                            ;   in Loop: Header=BB0_7082 Depth=1
	s_delay_alu instid0(VALU_DEP_1)
	v_add_nc_u32_e32 v8, 0x38000000, v8
; %bb.10455:                            ;   in Loop: Header=BB0_7082 Depth=1
	s_or_b32 exec_lo, exec_lo, s85
.LBB0_10456:                            ;   in Loop: Header=BB0_7082 Depth=1
	s_and_not1_saveexec_b32 s84, s84
; %bb.10457:                            ;   in Loop: Header=BB0_7082 Depth=1
	s_delay_alu instid0(VALU_DEP_1)
	v_add_nc_u32_e32 v8, 0x3c000000, v8
; %bb.10458:                            ;   in Loop: Header=BB0_7082 Depth=1
	s_or_b32 exec_lo, exec_lo, s84
.LBB0_10459:                            ;   in Loop: Header=BB0_7082 Depth=1
	s_and_not1_saveexec_b32 s83, s83
; %bb.10460:                            ;   in Loop: Header=BB0_7082 Depth=1
	s_delay_alu instid0(VALU_DEP_1)
	v_add_nc_u32_e32 v8, 2.0, v8
; %bb.10461:                            ;   in Loop: Header=BB0_7082 Depth=1
	s_or_b32 exec_lo, exec_lo, s83
.LBB0_10462:                            ;   in Loop: Header=BB0_7082 Depth=1
	s_and_not1_saveexec_b32 s82, s82
; %bb.10463:                            ;   in Loop: Header=BB0_7082 Depth=1
	s_delay_alu instid0(VALU_DEP_1)
	v_add_nc_u32_e32 v8, 0x44000000, v8
; %bb.10464:                            ;   in Loop: Header=BB0_7082 Depth=1
	s_or_b32 exec_lo, exec_lo, s82
.LBB0_10465:                            ;   in Loop: Header=BB0_7082 Depth=1
	s_and_not1_saveexec_b32 s81, s81
; %bb.10466:                            ;   in Loop: Header=BB0_7082 Depth=1
	s_delay_alu instid0(VALU_DEP_1)
	v_add_nc_u32_e32 v8, 0x48000000, v8
; %bb.10467:                            ;   in Loop: Header=BB0_7082 Depth=1
	s_or_b32 exec_lo, exec_lo, s81
.LBB0_10468:                            ;   in Loop: Header=BB0_7082 Depth=1
	s_and_not1_saveexec_b32 s80, s80
; %bb.10469:                            ;   in Loop: Header=BB0_7082 Depth=1
	s_delay_alu instid0(VALU_DEP_1)
	v_add_nc_u32_e32 v8, 0x4c000000, v8
; %bb.10470:                            ;   in Loop: Header=BB0_7082 Depth=1
	s_or_b32 exec_lo, exec_lo, s80
.LBB0_10471:                            ;   in Loop: Header=BB0_7082 Depth=1
	s_and_not1_saveexec_b32 s79, s79
; %bb.10472:                            ;   in Loop: Header=BB0_7082 Depth=1
	s_delay_alu instid0(VALU_DEP_1)
	v_add_nc_u32_e32 v8, 0x50000000, v8
; %bb.10473:                            ;   in Loop: Header=BB0_7082 Depth=1
	s_or_b32 exec_lo, exec_lo, s79
.LBB0_10474:                            ;   in Loop: Header=BB0_7082 Depth=1
	s_and_not1_saveexec_b32 s78, s78
; %bb.10475:                            ;   in Loop: Header=BB0_7082 Depth=1
	s_delay_alu instid0(VALU_DEP_1)
	v_add_nc_u32_e32 v8, 0x54000000, v8
; %bb.10476:                            ;   in Loop: Header=BB0_7082 Depth=1
	s_or_b32 exec_lo, exec_lo, s78
.LBB0_10477:                            ;   in Loop: Header=BB0_7082 Depth=1
	s_and_not1_saveexec_b32 s77, s77
; %bb.10478:                            ;   in Loop: Header=BB0_7082 Depth=1
	s_delay_alu instid0(VALU_DEP_1)
	v_add_nc_u32_e32 v8, 0x58000000, v8
; %bb.10479:                            ;   in Loop: Header=BB0_7082 Depth=1
	s_or_b32 exec_lo, exec_lo, s77
.LBB0_10480:                            ;   in Loop: Header=BB0_7082 Depth=1
	s_and_not1_saveexec_b32 s76, s76
; %bb.10481:                            ;   in Loop: Header=BB0_7082 Depth=1
	s_delay_alu instid0(VALU_DEP_1)
	v_add_nc_u32_e32 v8, 0x5c000000, v8
; %bb.10482:                            ;   in Loop: Header=BB0_7082 Depth=1
	s_or_b32 exec_lo, exec_lo, s76
.LBB0_10483:                            ;   in Loop: Header=BB0_7082 Depth=1
	s_and_not1_saveexec_b32 s75, s75
; %bb.10484:                            ;   in Loop: Header=BB0_7082 Depth=1
	s_delay_alu instid0(VALU_DEP_1)
	v_add_nc_u32_e32 v8, 0x60000000, v8
; %bb.10485:                            ;   in Loop: Header=BB0_7082 Depth=1
	s_or_b32 exec_lo, exec_lo, s75
.LBB0_10486:                            ;   in Loop: Header=BB0_7082 Depth=1
	s_and_not1_saveexec_b32 s74, s74
; %bb.10487:                            ;   in Loop: Header=BB0_7082 Depth=1
	s_delay_alu instid0(VALU_DEP_1)
	v_add_nc_u32_e32 v8, 0x64000000, v8
; %bb.10488:                            ;   in Loop: Header=BB0_7082 Depth=1
	s_or_b32 exec_lo, exec_lo, s74
.LBB0_10489:                            ;   in Loop: Header=BB0_7082 Depth=1
	s_and_not1_saveexec_b32 s73, s73
; %bb.10490:                            ;   in Loop: Header=BB0_7082 Depth=1
	s_delay_alu instid0(VALU_DEP_1)
	v_add_nc_u32_e32 v8, 0x68000000, v8
; %bb.10491:                            ;   in Loop: Header=BB0_7082 Depth=1
	s_or_b32 exec_lo, exec_lo, s73
.LBB0_10492:                            ;   in Loop: Header=BB0_7082 Depth=1
	s_and_not1_saveexec_b32 s72, s72
; %bb.10493:                            ;   in Loop: Header=BB0_7082 Depth=1
	s_delay_alu instid0(VALU_DEP_1)
	v_add_nc_u32_e32 v8, 0x6c000000, v8
; %bb.10494:                            ;   in Loop: Header=BB0_7082 Depth=1
	s_or_b32 exec_lo, exec_lo, s72
.LBB0_10495:                            ;   in Loop: Header=BB0_7082 Depth=1
	s_and_not1_saveexec_b32 s71, s71
; %bb.10496:                            ;   in Loop: Header=BB0_7082 Depth=1
	s_delay_alu instid0(VALU_DEP_1)
	v_add_nc_u32_e32 v8, 0x70000000, v8
; %bb.10497:                            ;   in Loop: Header=BB0_7082 Depth=1
	s_or_b32 exec_lo, exec_lo, s71
.LBB0_10498:                            ;   in Loop: Header=BB0_7082 Depth=1
	s_and_not1_saveexec_b32 s70, s70
; %bb.10499:                            ;   in Loop: Header=BB0_7082 Depth=1
	s_delay_alu instid0(VALU_DEP_1)
	v_add_nc_u32_e32 v8, 0x74000000, v8
; %bb.10500:                            ;   in Loop: Header=BB0_7082 Depth=1
	s_or_b32 exec_lo, exec_lo, s70
.LBB0_10501:                            ;   in Loop: Header=BB0_7082 Depth=1
	s_and_not1_saveexec_b32 s69, s69
; %bb.10502:                            ;   in Loop: Header=BB0_7082 Depth=1
	s_delay_alu instid0(VALU_DEP_1)
	v_add_nc_u32_e32 v8, 0x78000000, v8
; %bb.10503:                            ;   in Loop: Header=BB0_7082 Depth=1
	s_or_b32 exec_lo, exec_lo, s69
.LBB0_10504:                            ;   in Loop: Header=BB0_7082 Depth=1
	s_and_not1_saveexec_b32 s68, s68
; %bb.10505:                            ;   in Loop: Header=BB0_7082 Depth=1
	s_delay_alu instid0(VALU_DEP_1)
	v_add_nc_u32_e32 v8, 0x7c000000, v8
; %bb.10506:                            ;   in Loop: Header=BB0_7082 Depth=1
	s_or_b32 exec_lo, exec_lo, s68
	v_dual_mov_b32 v0, s62 :: v_dual_mov_b32 v9, 0x7c
	v_add3_u32 v11, v10, s63, 0x1c000
	s_mov_b32 s68, exec_lo
	ds_load_2addr_b64 v[12:15], v0 offset0:96 offset1:97
	ds_load_b64 v[16:17], v0 offset:784
	global_store_b32 v11, v8, s[34:35] scale_offset
	s_wait_dscnt 0x1
	v_mul_f64_e32 v[0:1], v[4:5], v[14:15]
	s_delay_alu instid0(VALU_DEP_1) | instskip(SKIP_1) | instid1(VALU_DEP_1)
	v_fmac_f64_e32 v[0:1], v[2:3], v[12:13]
	s_wait_dscnt 0x0
	v_fmac_f64_e32 v[0:1], v[6:7], v[16:17]
	s_wait_xcnt 0x0
	s_delay_alu instid0(VALU_DEP_1)
	v_cmpx_ngt_f64_e32 s[60:61], v[0:1]
	s_cbranch_execz .LBB0_10568
; %bb.10507:                            ;   in Loop: Header=BB0_7082 Depth=1
	v_mov_b32_e32 v9, 0x78
	s_mov_b32 s69, exec_lo
	v_cmpx_ngt_f64_e32 s[66:67], v[0:1]
	s_cbranch_execz .LBB0_10567
; %bb.10508:                            ;   in Loop: Header=BB0_7082 Depth=1
	v_mov_b32_e32 v9, 0x74
	s_mov_b32 s70, exec_lo
	;; [unrolled: 5-line block ×30, first 2 shown]
	v_cmpx_gt_f64_e32 s[36:37], v[0:1]
; %bb.10537:                            ;   in Loop: Header=BB0_7082 Depth=1
	v_mov_b32_e32 v9, 4
; %bb.10538:                            ;   in Loop: Header=BB0_7082 Depth=1
	s_or_b32 exec_lo, exec_lo, s98
.LBB0_10539:                            ;   in Loop: Header=BB0_7082 Depth=1
	s_delay_alu instid0(SALU_CYCLE_1)
	s_or_b32 exec_lo, exec_lo, s97
.LBB0_10540:                            ;   in Loop: Header=BB0_7082 Depth=1
	s_delay_alu instid0(SALU_CYCLE_1)
	s_or_b32 exec_lo, exec_lo, s96
.LBB0_10541:                            ;   in Loop: Header=BB0_7082 Depth=1
	s_delay_alu instid0(SALU_CYCLE_1)
	s_or_b32 exec_lo, exec_lo, s95
.LBB0_10542:                            ;   in Loop: Header=BB0_7082 Depth=1
	s_delay_alu instid0(SALU_CYCLE_1)
	s_or_b32 exec_lo, exec_lo, s94
.LBB0_10543:                            ;   in Loop: Header=BB0_7082 Depth=1
	s_delay_alu instid0(SALU_CYCLE_1)
	s_or_b32 exec_lo, exec_lo, s93
.LBB0_10544:                            ;   in Loop: Header=BB0_7082 Depth=1
	s_delay_alu instid0(SALU_CYCLE_1)
	s_or_b32 exec_lo, exec_lo, s92
.LBB0_10545:                            ;   in Loop: Header=BB0_7082 Depth=1
	s_delay_alu instid0(SALU_CYCLE_1)
	s_or_b32 exec_lo, exec_lo, s91
.LBB0_10546:                            ;   in Loop: Header=BB0_7082 Depth=1
	s_delay_alu instid0(SALU_CYCLE_1)
	s_or_b32 exec_lo, exec_lo, s90
.LBB0_10547:                            ;   in Loop: Header=BB0_7082 Depth=1
	s_delay_alu instid0(SALU_CYCLE_1)
	s_or_b32 exec_lo, exec_lo, s89
.LBB0_10548:                            ;   in Loop: Header=BB0_7082 Depth=1
	s_delay_alu instid0(SALU_CYCLE_1)
	s_or_b32 exec_lo, exec_lo, s88
.LBB0_10549:                            ;   in Loop: Header=BB0_7082 Depth=1
	s_delay_alu instid0(SALU_CYCLE_1)
	s_or_b32 exec_lo, exec_lo, s87
.LBB0_10550:                            ;   in Loop: Header=BB0_7082 Depth=1
	s_delay_alu instid0(SALU_CYCLE_1)
	s_or_b32 exec_lo, exec_lo, s86
.LBB0_10551:                            ;   in Loop: Header=BB0_7082 Depth=1
	s_delay_alu instid0(SALU_CYCLE_1)
	s_or_b32 exec_lo, exec_lo, s85
.LBB0_10552:                            ;   in Loop: Header=BB0_7082 Depth=1
	s_delay_alu instid0(SALU_CYCLE_1)
	s_or_b32 exec_lo, exec_lo, s84
.LBB0_10553:                            ;   in Loop: Header=BB0_7082 Depth=1
	s_delay_alu instid0(SALU_CYCLE_1)
	s_or_b32 exec_lo, exec_lo, s83
.LBB0_10554:                            ;   in Loop: Header=BB0_7082 Depth=1
	s_delay_alu instid0(SALU_CYCLE_1)
	s_or_b32 exec_lo, exec_lo, s82
.LBB0_10555:                            ;   in Loop: Header=BB0_7082 Depth=1
	s_delay_alu instid0(SALU_CYCLE_1)
	s_or_b32 exec_lo, exec_lo, s81
.LBB0_10556:                            ;   in Loop: Header=BB0_7082 Depth=1
	s_delay_alu instid0(SALU_CYCLE_1)
	s_or_b32 exec_lo, exec_lo, s80
.LBB0_10557:                            ;   in Loop: Header=BB0_7082 Depth=1
	s_delay_alu instid0(SALU_CYCLE_1)
	s_or_b32 exec_lo, exec_lo, s79
.LBB0_10558:                            ;   in Loop: Header=BB0_7082 Depth=1
	s_delay_alu instid0(SALU_CYCLE_1)
	s_or_b32 exec_lo, exec_lo, s78
.LBB0_10559:                            ;   in Loop: Header=BB0_7082 Depth=1
	s_delay_alu instid0(SALU_CYCLE_1)
	s_or_b32 exec_lo, exec_lo, s77
.LBB0_10560:                            ;   in Loop: Header=BB0_7082 Depth=1
	s_delay_alu instid0(SALU_CYCLE_1)
	s_or_b32 exec_lo, exec_lo, s76
.LBB0_10561:                            ;   in Loop: Header=BB0_7082 Depth=1
	s_delay_alu instid0(SALU_CYCLE_1)
	s_or_b32 exec_lo, exec_lo, s75
.LBB0_10562:                            ;   in Loop: Header=BB0_7082 Depth=1
	s_delay_alu instid0(SALU_CYCLE_1)
	s_or_b32 exec_lo, exec_lo, s74
.LBB0_10563:                            ;   in Loop: Header=BB0_7082 Depth=1
	s_delay_alu instid0(SALU_CYCLE_1)
	s_or_b32 exec_lo, exec_lo, s73
.LBB0_10564:                            ;   in Loop: Header=BB0_7082 Depth=1
	s_delay_alu instid0(SALU_CYCLE_1)
	s_or_b32 exec_lo, exec_lo, s72
.LBB0_10565:                            ;   in Loop: Header=BB0_7082 Depth=1
	s_delay_alu instid0(SALU_CYCLE_1)
	s_or_b32 exec_lo, exec_lo, s71
.LBB0_10566:                            ;   in Loop: Header=BB0_7082 Depth=1
	s_delay_alu instid0(SALU_CYCLE_1)
	s_or_b32 exec_lo, exec_lo, s70
.LBB0_10567:                            ;   in Loop: Header=BB0_7082 Depth=1
	s_delay_alu instid0(SALU_CYCLE_1)
	s_or_b32 exec_lo, exec_lo, s69
.LBB0_10568:                            ;   in Loop: Header=BB0_7082 Depth=1
	s_delay_alu instid0(SALU_CYCLE_1)
	s_or_b32 exec_lo, exec_lo, s68
	v_mov_b32_e32 v0, s62
	s_mov_b32 s68, exec_lo
	ds_load_2addr_b64 v[12:15], v0 offset0:99 offset1:100
	ds_load_b64 v[16:17], v0 offset:808
	s_wait_dscnt 0x1
	v_mul_f64_e32 v[0:1], v[4:5], v[14:15]
	s_delay_alu instid0(VALU_DEP_1) | instskip(SKIP_1) | instid1(VALU_DEP_1)
	v_fmac_f64_e32 v[0:1], v[2:3], v[12:13]
	s_wait_dscnt 0x0
	v_fmac_f64_e32 v[0:1], v[6:7], v[16:17]
	s_delay_alu instid0(VALU_DEP_1)
	v_cmpx_ngt_f64_e32 s[60:61], v[0:1]
	s_xor_b32 s68, exec_lo, s68
	s_cbranch_execz .LBB0_10688
; %bb.10569:                            ;   in Loop: Header=BB0_7082 Depth=1
	s_mov_b32 s69, exec_lo
	v_cmpx_ngt_f64_e32 s[66:67], v[0:1]
	s_xor_b32 s69, exec_lo, s69
	s_cbranch_execz .LBB0_10685
; %bb.10570:                            ;   in Loop: Header=BB0_7082 Depth=1
	s_mov_b32 s70, exec_lo
	;; [unrolled: 5-line block ×30, first 2 shown]
	v_cmpx_gt_f64_e32 s[36:37], v[0:1]
; %bb.10599:                            ;   in Loop: Header=BB0_7082 Depth=1
	v_or_b32_e32 v9, 0x400, v9
; %bb.10600:                            ;   in Loop: Header=BB0_7082 Depth=1
	s_or_b32 exec_lo, exec_lo, s98
.LBB0_10601:                            ;   in Loop: Header=BB0_7082 Depth=1
	s_and_not1_saveexec_b32 s97, s97
; %bb.10602:                            ;   in Loop: Header=BB0_7082 Depth=1
	s_delay_alu instid0(VALU_DEP_1)
	v_or_b32_e32 v9, 0x800, v9
; %bb.10603:                            ;   in Loop: Header=BB0_7082 Depth=1
	s_or_b32 exec_lo, exec_lo, s97
.LBB0_10604:                            ;   in Loop: Header=BB0_7082 Depth=1
	s_and_not1_saveexec_b32 s96, s96
; %bb.10605:                            ;   in Loop: Header=BB0_7082 Depth=1
	s_delay_alu instid0(VALU_DEP_1)
	v_or_b32_e32 v9, 0xc00, v9
; %bb.10606:                            ;   in Loop: Header=BB0_7082 Depth=1
	s_or_b32 exec_lo, exec_lo, s96
.LBB0_10607:                            ;   in Loop: Header=BB0_7082 Depth=1
	s_and_not1_saveexec_b32 s95, s95
; %bb.10608:                            ;   in Loop: Header=BB0_7082 Depth=1
	s_delay_alu instid0(VALU_DEP_1)
	v_or_b32_e32 v9, 0x1000, v9
; %bb.10609:                            ;   in Loop: Header=BB0_7082 Depth=1
	s_or_b32 exec_lo, exec_lo, s95
.LBB0_10610:                            ;   in Loop: Header=BB0_7082 Depth=1
	s_and_not1_saveexec_b32 s94, s94
; %bb.10611:                            ;   in Loop: Header=BB0_7082 Depth=1
	s_delay_alu instid0(VALU_DEP_1)
	v_or_b32_e32 v9, 0x1400, v9
; %bb.10612:                            ;   in Loop: Header=BB0_7082 Depth=1
	s_or_b32 exec_lo, exec_lo, s94
.LBB0_10613:                            ;   in Loop: Header=BB0_7082 Depth=1
	s_and_not1_saveexec_b32 s93, s93
; %bb.10614:                            ;   in Loop: Header=BB0_7082 Depth=1
	s_delay_alu instid0(VALU_DEP_1)
	v_or_b32_e32 v9, 0x1800, v9
; %bb.10615:                            ;   in Loop: Header=BB0_7082 Depth=1
	s_or_b32 exec_lo, exec_lo, s93
.LBB0_10616:                            ;   in Loop: Header=BB0_7082 Depth=1
	s_and_not1_saveexec_b32 s92, s92
; %bb.10617:                            ;   in Loop: Header=BB0_7082 Depth=1
	s_delay_alu instid0(VALU_DEP_1)
	v_or_b32_e32 v9, 0x1c00, v9
; %bb.10618:                            ;   in Loop: Header=BB0_7082 Depth=1
	s_or_b32 exec_lo, exec_lo, s92
.LBB0_10619:                            ;   in Loop: Header=BB0_7082 Depth=1
	s_and_not1_saveexec_b32 s91, s91
; %bb.10620:                            ;   in Loop: Header=BB0_7082 Depth=1
	s_delay_alu instid0(VALU_DEP_1)
	v_or_b32_e32 v9, 0x2000, v9
; %bb.10621:                            ;   in Loop: Header=BB0_7082 Depth=1
	s_or_b32 exec_lo, exec_lo, s91
.LBB0_10622:                            ;   in Loop: Header=BB0_7082 Depth=1
	s_and_not1_saveexec_b32 s90, s90
; %bb.10623:                            ;   in Loop: Header=BB0_7082 Depth=1
	s_delay_alu instid0(VALU_DEP_1)
	v_or_b32_e32 v9, 0x2400, v9
; %bb.10624:                            ;   in Loop: Header=BB0_7082 Depth=1
	s_or_b32 exec_lo, exec_lo, s90
.LBB0_10625:                            ;   in Loop: Header=BB0_7082 Depth=1
	s_and_not1_saveexec_b32 s89, s89
; %bb.10626:                            ;   in Loop: Header=BB0_7082 Depth=1
	s_delay_alu instid0(VALU_DEP_1)
	v_or_b32_e32 v9, 0x2800, v9
; %bb.10627:                            ;   in Loop: Header=BB0_7082 Depth=1
	s_or_b32 exec_lo, exec_lo, s89
.LBB0_10628:                            ;   in Loop: Header=BB0_7082 Depth=1
	s_and_not1_saveexec_b32 s88, s88
; %bb.10629:                            ;   in Loop: Header=BB0_7082 Depth=1
	s_delay_alu instid0(VALU_DEP_1)
	v_or_b32_e32 v9, 0x2c00, v9
; %bb.10630:                            ;   in Loop: Header=BB0_7082 Depth=1
	s_or_b32 exec_lo, exec_lo, s88
.LBB0_10631:                            ;   in Loop: Header=BB0_7082 Depth=1
	s_and_not1_saveexec_b32 s87, s87
; %bb.10632:                            ;   in Loop: Header=BB0_7082 Depth=1
	s_delay_alu instid0(VALU_DEP_1)
	v_or_b32_e32 v9, 0x3000, v9
; %bb.10633:                            ;   in Loop: Header=BB0_7082 Depth=1
	s_or_b32 exec_lo, exec_lo, s87
.LBB0_10634:                            ;   in Loop: Header=BB0_7082 Depth=1
	s_and_not1_saveexec_b32 s86, s86
; %bb.10635:                            ;   in Loop: Header=BB0_7082 Depth=1
	s_delay_alu instid0(VALU_DEP_1)
	v_or_b32_e32 v9, 0x3400, v9
; %bb.10636:                            ;   in Loop: Header=BB0_7082 Depth=1
	s_or_b32 exec_lo, exec_lo, s86
.LBB0_10637:                            ;   in Loop: Header=BB0_7082 Depth=1
	s_and_not1_saveexec_b32 s85, s85
; %bb.10638:                            ;   in Loop: Header=BB0_7082 Depth=1
	s_delay_alu instid0(VALU_DEP_1)
	v_or_b32_e32 v9, 0x3800, v9
; %bb.10639:                            ;   in Loop: Header=BB0_7082 Depth=1
	s_or_b32 exec_lo, exec_lo, s85
.LBB0_10640:                            ;   in Loop: Header=BB0_7082 Depth=1
	s_and_not1_saveexec_b32 s84, s84
; %bb.10641:                            ;   in Loop: Header=BB0_7082 Depth=1
	s_delay_alu instid0(VALU_DEP_1)
	v_or_b32_e32 v9, 0x3c00, v9
; %bb.10642:                            ;   in Loop: Header=BB0_7082 Depth=1
	s_or_b32 exec_lo, exec_lo, s84
.LBB0_10643:                            ;   in Loop: Header=BB0_7082 Depth=1
	s_and_not1_saveexec_b32 s83, s83
; %bb.10644:                            ;   in Loop: Header=BB0_7082 Depth=1
	s_delay_alu instid0(VALU_DEP_1)
	v_or_b32_e32 v9, 0x4000, v9
; %bb.10645:                            ;   in Loop: Header=BB0_7082 Depth=1
	s_or_b32 exec_lo, exec_lo, s83
.LBB0_10646:                            ;   in Loop: Header=BB0_7082 Depth=1
	s_and_not1_saveexec_b32 s82, s82
; %bb.10647:                            ;   in Loop: Header=BB0_7082 Depth=1
	s_delay_alu instid0(VALU_DEP_1)
	v_or_b32_e32 v9, 0x4400, v9
; %bb.10648:                            ;   in Loop: Header=BB0_7082 Depth=1
	s_or_b32 exec_lo, exec_lo, s82
.LBB0_10649:                            ;   in Loop: Header=BB0_7082 Depth=1
	s_and_not1_saveexec_b32 s81, s81
; %bb.10650:                            ;   in Loop: Header=BB0_7082 Depth=1
	s_delay_alu instid0(VALU_DEP_1)
	v_or_b32_e32 v9, 0x4800, v9
; %bb.10651:                            ;   in Loop: Header=BB0_7082 Depth=1
	s_or_b32 exec_lo, exec_lo, s81
.LBB0_10652:                            ;   in Loop: Header=BB0_7082 Depth=1
	s_and_not1_saveexec_b32 s80, s80
; %bb.10653:                            ;   in Loop: Header=BB0_7082 Depth=1
	s_delay_alu instid0(VALU_DEP_1)
	v_or_b32_e32 v9, 0x4c00, v9
; %bb.10654:                            ;   in Loop: Header=BB0_7082 Depth=1
	s_or_b32 exec_lo, exec_lo, s80
.LBB0_10655:                            ;   in Loop: Header=BB0_7082 Depth=1
	s_and_not1_saveexec_b32 s79, s79
; %bb.10656:                            ;   in Loop: Header=BB0_7082 Depth=1
	s_delay_alu instid0(VALU_DEP_1)
	v_or_b32_e32 v9, 0x5000, v9
; %bb.10657:                            ;   in Loop: Header=BB0_7082 Depth=1
	s_or_b32 exec_lo, exec_lo, s79
.LBB0_10658:                            ;   in Loop: Header=BB0_7082 Depth=1
	s_and_not1_saveexec_b32 s78, s78
; %bb.10659:                            ;   in Loop: Header=BB0_7082 Depth=1
	s_delay_alu instid0(VALU_DEP_1)
	v_or_b32_e32 v9, 0x5400, v9
; %bb.10660:                            ;   in Loop: Header=BB0_7082 Depth=1
	s_or_b32 exec_lo, exec_lo, s78
.LBB0_10661:                            ;   in Loop: Header=BB0_7082 Depth=1
	s_and_not1_saveexec_b32 s77, s77
; %bb.10662:                            ;   in Loop: Header=BB0_7082 Depth=1
	s_delay_alu instid0(VALU_DEP_1)
	v_or_b32_e32 v9, 0x5800, v9
; %bb.10663:                            ;   in Loop: Header=BB0_7082 Depth=1
	s_or_b32 exec_lo, exec_lo, s77
.LBB0_10664:                            ;   in Loop: Header=BB0_7082 Depth=1
	s_and_not1_saveexec_b32 s76, s76
; %bb.10665:                            ;   in Loop: Header=BB0_7082 Depth=1
	s_delay_alu instid0(VALU_DEP_1)
	v_or_b32_e32 v9, 0x5c00, v9
; %bb.10666:                            ;   in Loop: Header=BB0_7082 Depth=1
	s_or_b32 exec_lo, exec_lo, s76
.LBB0_10667:                            ;   in Loop: Header=BB0_7082 Depth=1
	s_and_not1_saveexec_b32 s75, s75
; %bb.10668:                            ;   in Loop: Header=BB0_7082 Depth=1
	s_delay_alu instid0(VALU_DEP_1)
	v_or_b32_e32 v9, 0x6000, v9
; %bb.10669:                            ;   in Loop: Header=BB0_7082 Depth=1
	s_or_b32 exec_lo, exec_lo, s75
.LBB0_10670:                            ;   in Loop: Header=BB0_7082 Depth=1
	s_and_not1_saveexec_b32 s74, s74
; %bb.10671:                            ;   in Loop: Header=BB0_7082 Depth=1
	s_delay_alu instid0(VALU_DEP_1)
	v_or_b32_e32 v9, 0x6400, v9
; %bb.10672:                            ;   in Loop: Header=BB0_7082 Depth=1
	s_or_b32 exec_lo, exec_lo, s74
.LBB0_10673:                            ;   in Loop: Header=BB0_7082 Depth=1
	s_and_not1_saveexec_b32 s73, s73
; %bb.10674:                            ;   in Loop: Header=BB0_7082 Depth=1
	s_delay_alu instid0(VALU_DEP_1)
	v_or_b32_e32 v9, 0x6800, v9
; %bb.10675:                            ;   in Loop: Header=BB0_7082 Depth=1
	s_or_b32 exec_lo, exec_lo, s73
.LBB0_10676:                            ;   in Loop: Header=BB0_7082 Depth=1
	s_and_not1_saveexec_b32 s72, s72
; %bb.10677:                            ;   in Loop: Header=BB0_7082 Depth=1
	s_delay_alu instid0(VALU_DEP_1)
	v_or_b32_e32 v9, 0x6c00, v9
; %bb.10678:                            ;   in Loop: Header=BB0_7082 Depth=1
	s_or_b32 exec_lo, exec_lo, s72
.LBB0_10679:                            ;   in Loop: Header=BB0_7082 Depth=1
	s_and_not1_saveexec_b32 s71, s71
; %bb.10680:                            ;   in Loop: Header=BB0_7082 Depth=1
	s_delay_alu instid0(VALU_DEP_1)
	v_or_b32_e32 v9, 0x7000, v9
; %bb.10681:                            ;   in Loop: Header=BB0_7082 Depth=1
	s_or_b32 exec_lo, exec_lo, s71
.LBB0_10682:                            ;   in Loop: Header=BB0_7082 Depth=1
	s_and_not1_saveexec_b32 s70, s70
; %bb.10683:                            ;   in Loop: Header=BB0_7082 Depth=1
	s_delay_alu instid0(VALU_DEP_1)
	v_or_b32_e32 v9, 0x7400, v9
; %bb.10684:                            ;   in Loop: Header=BB0_7082 Depth=1
	s_or_b32 exec_lo, exec_lo, s70
.LBB0_10685:                            ;   in Loop: Header=BB0_7082 Depth=1
	s_and_not1_saveexec_b32 s69, s69
; %bb.10686:                            ;   in Loop: Header=BB0_7082 Depth=1
	s_delay_alu instid0(VALU_DEP_1)
	v_or_b32_e32 v9, 0x7800, v9
; %bb.10687:                            ;   in Loop: Header=BB0_7082 Depth=1
	s_or_b32 exec_lo, exec_lo, s69
.LBB0_10688:                            ;   in Loop: Header=BB0_7082 Depth=1
	s_and_not1_saveexec_b32 s68, s68
; %bb.10689:                            ;   in Loop: Header=BB0_7082 Depth=1
	s_delay_alu instid0(VALU_DEP_1)
	v_or_b32_e32 v9, 0x7c00, v9
; %bb.10690:                            ;   in Loop: Header=BB0_7082 Depth=1
	s_or_b32 exec_lo, exec_lo, s68
	v_mov_b32_e32 v0, s62
	s_mov_b32 s68, exec_lo
	ds_load_2addr_b64 v[12:15], v0 offset0:102 offset1:103
	ds_load_b64 v[16:17], v0 offset:832
	s_wait_dscnt 0x1
	v_mul_f64_e32 v[0:1], v[4:5], v[14:15]
	s_delay_alu instid0(VALU_DEP_1) | instskip(SKIP_1) | instid1(VALU_DEP_1)
	v_fmac_f64_e32 v[0:1], v[2:3], v[12:13]
	s_wait_dscnt 0x0
	v_fmac_f64_e32 v[0:1], v[6:7], v[16:17]
	s_delay_alu instid0(VALU_DEP_1)
	v_cmpx_ngt_f64_e32 s[60:61], v[0:1]
	s_xor_b32 s68, exec_lo, s68
	s_cbranch_execz .LBB0_10810
; %bb.10691:                            ;   in Loop: Header=BB0_7082 Depth=1
	s_mov_b32 s69, exec_lo
	v_cmpx_ngt_f64_e32 s[66:67], v[0:1]
	s_xor_b32 s69, exec_lo, s69
	s_cbranch_execz .LBB0_10807
; %bb.10692:                            ;   in Loop: Header=BB0_7082 Depth=1
	s_mov_b32 s70, exec_lo
	;; [unrolled: 5-line block ×30, first 2 shown]
	v_cmpx_gt_f64_e32 s[36:37], v[0:1]
; %bb.10721:                            ;   in Loop: Header=BB0_7082 Depth=1
	v_add_nc_u32_e32 v9, 0x40000, v9
; %bb.10722:                            ;   in Loop: Header=BB0_7082 Depth=1
	s_or_b32 exec_lo, exec_lo, s98
.LBB0_10723:                            ;   in Loop: Header=BB0_7082 Depth=1
	s_and_not1_saveexec_b32 s97, s97
; %bb.10724:                            ;   in Loop: Header=BB0_7082 Depth=1
	s_delay_alu instid0(VALU_DEP_1)
	v_add_nc_u32_e32 v9, 0x80000, v9
; %bb.10725:                            ;   in Loop: Header=BB0_7082 Depth=1
	s_or_b32 exec_lo, exec_lo, s97
.LBB0_10726:                            ;   in Loop: Header=BB0_7082 Depth=1
	s_and_not1_saveexec_b32 s96, s96
; %bb.10727:                            ;   in Loop: Header=BB0_7082 Depth=1
	s_delay_alu instid0(VALU_DEP_1)
	v_add_nc_u32_e32 v9, 0xc0000, v9
; %bb.10728:                            ;   in Loop: Header=BB0_7082 Depth=1
	s_or_b32 exec_lo, exec_lo, s96
.LBB0_10729:                            ;   in Loop: Header=BB0_7082 Depth=1
	s_and_not1_saveexec_b32 s95, s95
; %bb.10730:                            ;   in Loop: Header=BB0_7082 Depth=1
	s_delay_alu instid0(VALU_DEP_1)
	v_add_nc_u32_e32 v9, 0x100000, v9
; %bb.10731:                            ;   in Loop: Header=BB0_7082 Depth=1
	s_or_b32 exec_lo, exec_lo, s95
.LBB0_10732:                            ;   in Loop: Header=BB0_7082 Depth=1
	s_and_not1_saveexec_b32 s94, s94
; %bb.10733:                            ;   in Loop: Header=BB0_7082 Depth=1
	s_delay_alu instid0(VALU_DEP_1)
	v_add_nc_u32_e32 v9, 0x140000, v9
; %bb.10734:                            ;   in Loop: Header=BB0_7082 Depth=1
	s_or_b32 exec_lo, exec_lo, s94
.LBB0_10735:                            ;   in Loop: Header=BB0_7082 Depth=1
	s_and_not1_saveexec_b32 s93, s93
; %bb.10736:                            ;   in Loop: Header=BB0_7082 Depth=1
	s_delay_alu instid0(VALU_DEP_1)
	v_add_nc_u32_e32 v9, 0x180000, v9
; %bb.10737:                            ;   in Loop: Header=BB0_7082 Depth=1
	s_or_b32 exec_lo, exec_lo, s93
.LBB0_10738:                            ;   in Loop: Header=BB0_7082 Depth=1
	s_and_not1_saveexec_b32 s92, s92
; %bb.10739:                            ;   in Loop: Header=BB0_7082 Depth=1
	s_delay_alu instid0(VALU_DEP_1)
	v_add_nc_u32_e32 v9, 0x1c0000, v9
; %bb.10740:                            ;   in Loop: Header=BB0_7082 Depth=1
	s_or_b32 exec_lo, exec_lo, s92
.LBB0_10741:                            ;   in Loop: Header=BB0_7082 Depth=1
	s_and_not1_saveexec_b32 s91, s91
; %bb.10742:                            ;   in Loop: Header=BB0_7082 Depth=1
	s_delay_alu instid0(VALU_DEP_1)
	v_add_nc_u32_e32 v9, 0x200000, v9
; %bb.10743:                            ;   in Loop: Header=BB0_7082 Depth=1
	s_or_b32 exec_lo, exec_lo, s91
.LBB0_10744:                            ;   in Loop: Header=BB0_7082 Depth=1
	s_and_not1_saveexec_b32 s90, s90
; %bb.10745:                            ;   in Loop: Header=BB0_7082 Depth=1
	s_delay_alu instid0(VALU_DEP_1)
	v_add_nc_u32_e32 v9, 0x240000, v9
; %bb.10746:                            ;   in Loop: Header=BB0_7082 Depth=1
	s_or_b32 exec_lo, exec_lo, s90
.LBB0_10747:                            ;   in Loop: Header=BB0_7082 Depth=1
	s_and_not1_saveexec_b32 s89, s89
; %bb.10748:                            ;   in Loop: Header=BB0_7082 Depth=1
	s_delay_alu instid0(VALU_DEP_1)
	v_add_nc_u32_e32 v9, 0x280000, v9
; %bb.10749:                            ;   in Loop: Header=BB0_7082 Depth=1
	s_or_b32 exec_lo, exec_lo, s89
.LBB0_10750:                            ;   in Loop: Header=BB0_7082 Depth=1
	s_and_not1_saveexec_b32 s88, s88
; %bb.10751:                            ;   in Loop: Header=BB0_7082 Depth=1
	s_delay_alu instid0(VALU_DEP_1)
	v_add_nc_u32_e32 v9, 0x2c0000, v9
; %bb.10752:                            ;   in Loop: Header=BB0_7082 Depth=1
	s_or_b32 exec_lo, exec_lo, s88
.LBB0_10753:                            ;   in Loop: Header=BB0_7082 Depth=1
	s_and_not1_saveexec_b32 s87, s87
; %bb.10754:                            ;   in Loop: Header=BB0_7082 Depth=1
	s_delay_alu instid0(VALU_DEP_1)
	v_add_nc_u32_e32 v9, 0x300000, v9
; %bb.10755:                            ;   in Loop: Header=BB0_7082 Depth=1
	s_or_b32 exec_lo, exec_lo, s87
.LBB0_10756:                            ;   in Loop: Header=BB0_7082 Depth=1
	s_and_not1_saveexec_b32 s86, s86
; %bb.10757:                            ;   in Loop: Header=BB0_7082 Depth=1
	s_delay_alu instid0(VALU_DEP_1)
	v_add_nc_u32_e32 v9, 0x340000, v9
; %bb.10758:                            ;   in Loop: Header=BB0_7082 Depth=1
	s_or_b32 exec_lo, exec_lo, s86
.LBB0_10759:                            ;   in Loop: Header=BB0_7082 Depth=1
	s_and_not1_saveexec_b32 s85, s85
; %bb.10760:                            ;   in Loop: Header=BB0_7082 Depth=1
	s_delay_alu instid0(VALU_DEP_1)
	v_add_nc_u32_e32 v9, 0x380000, v9
; %bb.10761:                            ;   in Loop: Header=BB0_7082 Depth=1
	s_or_b32 exec_lo, exec_lo, s85
.LBB0_10762:                            ;   in Loop: Header=BB0_7082 Depth=1
	s_and_not1_saveexec_b32 s84, s84
; %bb.10763:                            ;   in Loop: Header=BB0_7082 Depth=1
	s_delay_alu instid0(VALU_DEP_1)
	v_add_nc_u32_e32 v9, 0x3c0000, v9
; %bb.10764:                            ;   in Loop: Header=BB0_7082 Depth=1
	s_or_b32 exec_lo, exec_lo, s84
.LBB0_10765:                            ;   in Loop: Header=BB0_7082 Depth=1
	s_and_not1_saveexec_b32 s83, s83
; %bb.10766:                            ;   in Loop: Header=BB0_7082 Depth=1
	s_delay_alu instid0(VALU_DEP_1)
	v_add_nc_u32_e32 v9, 0x400000, v9
; %bb.10767:                            ;   in Loop: Header=BB0_7082 Depth=1
	s_or_b32 exec_lo, exec_lo, s83
.LBB0_10768:                            ;   in Loop: Header=BB0_7082 Depth=1
	s_and_not1_saveexec_b32 s82, s82
; %bb.10769:                            ;   in Loop: Header=BB0_7082 Depth=1
	s_delay_alu instid0(VALU_DEP_1)
	v_add_nc_u32_e32 v9, 0x440000, v9
; %bb.10770:                            ;   in Loop: Header=BB0_7082 Depth=1
	s_or_b32 exec_lo, exec_lo, s82
.LBB0_10771:                            ;   in Loop: Header=BB0_7082 Depth=1
	s_and_not1_saveexec_b32 s81, s81
; %bb.10772:                            ;   in Loop: Header=BB0_7082 Depth=1
	s_delay_alu instid0(VALU_DEP_1)
	v_add_nc_u32_e32 v9, 0x480000, v9
; %bb.10773:                            ;   in Loop: Header=BB0_7082 Depth=1
	s_or_b32 exec_lo, exec_lo, s81
.LBB0_10774:                            ;   in Loop: Header=BB0_7082 Depth=1
	s_and_not1_saveexec_b32 s80, s80
; %bb.10775:                            ;   in Loop: Header=BB0_7082 Depth=1
	s_delay_alu instid0(VALU_DEP_1)
	v_add_nc_u32_e32 v9, 0x4c0000, v9
; %bb.10776:                            ;   in Loop: Header=BB0_7082 Depth=1
	s_or_b32 exec_lo, exec_lo, s80
.LBB0_10777:                            ;   in Loop: Header=BB0_7082 Depth=1
	s_and_not1_saveexec_b32 s79, s79
; %bb.10778:                            ;   in Loop: Header=BB0_7082 Depth=1
	s_delay_alu instid0(VALU_DEP_1)
	v_add_nc_u32_e32 v9, 0x500000, v9
; %bb.10779:                            ;   in Loop: Header=BB0_7082 Depth=1
	s_or_b32 exec_lo, exec_lo, s79
.LBB0_10780:                            ;   in Loop: Header=BB0_7082 Depth=1
	s_and_not1_saveexec_b32 s78, s78
; %bb.10781:                            ;   in Loop: Header=BB0_7082 Depth=1
	s_delay_alu instid0(VALU_DEP_1)
	v_add_nc_u32_e32 v9, 0x540000, v9
; %bb.10782:                            ;   in Loop: Header=BB0_7082 Depth=1
	s_or_b32 exec_lo, exec_lo, s78
.LBB0_10783:                            ;   in Loop: Header=BB0_7082 Depth=1
	s_and_not1_saveexec_b32 s77, s77
; %bb.10784:                            ;   in Loop: Header=BB0_7082 Depth=1
	s_delay_alu instid0(VALU_DEP_1)
	v_add_nc_u32_e32 v9, 0x580000, v9
; %bb.10785:                            ;   in Loop: Header=BB0_7082 Depth=1
	s_or_b32 exec_lo, exec_lo, s77
.LBB0_10786:                            ;   in Loop: Header=BB0_7082 Depth=1
	s_and_not1_saveexec_b32 s76, s76
; %bb.10787:                            ;   in Loop: Header=BB0_7082 Depth=1
	s_delay_alu instid0(VALU_DEP_1)
	v_add_nc_u32_e32 v9, 0x5c0000, v9
; %bb.10788:                            ;   in Loop: Header=BB0_7082 Depth=1
	s_or_b32 exec_lo, exec_lo, s76
.LBB0_10789:                            ;   in Loop: Header=BB0_7082 Depth=1
	s_and_not1_saveexec_b32 s75, s75
; %bb.10790:                            ;   in Loop: Header=BB0_7082 Depth=1
	s_delay_alu instid0(VALU_DEP_1)
	v_add_nc_u32_e32 v9, 0x600000, v9
; %bb.10791:                            ;   in Loop: Header=BB0_7082 Depth=1
	s_or_b32 exec_lo, exec_lo, s75
.LBB0_10792:                            ;   in Loop: Header=BB0_7082 Depth=1
	s_and_not1_saveexec_b32 s74, s74
; %bb.10793:                            ;   in Loop: Header=BB0_7082 Depth=1
	s_delay_alu instid0(VALU_DEP_1)
	v_add_nc_u32_e32 v9, 0x640000, v9
; %bb.10794:                            ;   in Loop: Header=BB0_7082 Depth=1
	s_or_b32 exec_lo, exec_lo, s74
.LBB0_10795:                            ;   in Loop: Header=BB0_7082 Depth=1
	s_and_not1_saveexec_b32 s73, s73
; %bb.10796:                            ;   in Loop: Header=BB0_7082 Depth=1
	s_delay_alu instid0(VALU_DEP_1)
	v_add_nc_u32_e32 v9, 0x680000, v9
; %bb.10797:                            ;   in Loop: Header=BB0_7082 Depth=1
	s_or_b32 exec_lo, exec_lo, s73
.LBB0_10798:                            ;   in Loop: Header=BB0_7082 Depth=1
	s_and_not1_saveexec_b32 s72, s72
; %bb.10799:                            ;   in Loop: Header=BB0_7082 Depth=1
	s_delay_alu instid0(VALU_DEP_1)
	v_add_nc_u32_e32 v9, 0x6c0000, v9
; %bb.10800:                            ;   in Loop: Header=BB0_7082 Depth=1
	s_or_b32 exec_lo, exec_lo, s72
.LBB0_10801:                            ;   in Loop: Header=BB0_7082 Depth=1
	s_and_not1_saveexec_b32 s71, s71
; %bb.10802:                            ;   in Loop: Header=BB0_7082 Depth=1
	s_delay_alu instid0(VALU_DEP_1)
	v_add_nc_u32_e32 v9, 0x700000, v9
; %bb.10803:                            ;   in Loop: Header=BB0_7082 Depth=1
	s_or_b32 exec_lo, exec_lo, s71
.LBB0_10804:                            ;   in Loop: Header=BB0_7082 Depth=1
	s_and_not1_saveexec_b32 s70, s70
; %bb.10805:                            ;   in Loop: Header=BB0_7082 Depth=1
	s_delay_alu instid0(VALU_DEP_1)
	v_add_nc_u32_e32 v9, 0x740000, v9
; %bb.10806:                            ;   in Loop: Header=BB0_7082 Depth=1
	s_or_b32 exec_lo, exec_lo, s70
.LBB0_10807:                            ;   in Loop: Header=BB0_7082 Depth=1
	s_and_not1_saveexec_b32 s69, s69
; %bb.10808:                            ;   in Loop: Header=BB0_7082 Depth=1
	s_delay_alu instid0(VALU_DEP_1)
	v_add_nc_u32_e32 v9, 0x780000, v9
; %bb.10809:                            ;   in Loop: Header=BB0_7082 Depth=1
	s_or_b32 exec_lo, exec_lo, s69
.LBB0_10810:                            ;   in Loop: Header=BB0_7082 Depth=1
	s_and_not1_saveexec_b32 s68, s68
; %bb.10811:                            ;   in Loop: Header=BB0_7082 Depth=1
	s_delay_alu instid0(VALU_DEP_1)
	v_add_nc_u32_e32 v9, 0x7c0000, v9
; %bb.10812:                            ;   in Loop: Header=BB0_7082 Depth=1
	s_or_b32 exec_lo, exec_lo, s68
	v_mov_b32_e32 v0, s62
	s_mov_b32 s68, exec_lo
	ds_load_2addr_b64 v[12:15], v0 offset0:105 offset1:106
	ds_load_b64 v[16:17], v0 offset:856
	s_wait_dscnt 0x1
	v_mul_f64_e32 v[0:1], v[4:5], v[14:15]
	s_delay_alu instid0(VALU_DEP_1) | instskip(SKIP_1) | instid1(VALU_DEP_1)
	v_fmac_f64_e32 v[0:1], v[2:3], v[12:13]
	s_wait_dscnt 0x0
	v_fmac_f64_e32 v[0:1], v[6:7], v[16:17]
	s_delay_alu instid0(VALU_DEP_1)
	v_cmpx_ngt_f64_e32 s[60:61], v[0:1]
	s_xor_b32 s68, exec_lo, s68
	s_cbranch_execz .LBB0_10932
; %bb.10813:                            ;   in Loop: Header=BB0_7082 Depth=1
	s_mov_b32 s69, exec_lo
	v_cmpx_ngt_f64_e32 s[66:67], v[0:1]
	s_xor_b32 s69, exec_lo, s69
	s_cbranch_execz .LBB0_10929
; %bb.10814:                            ;   in Loop: Header=BB0_7082 Depth=1
	s_mov_b32 s70, exec_lo
	;; [unrolled: 5-line block ×30, first 2 shown]
	v_cmpx_gt_f64_e32 s[36:37], v[0:1]
; %bb.10843:                            ;   in Loop: Header=BB0_7082 Depth=1
	v_add_nc_u32_e32 v9, 0x4000000, v9
; %bb.10844:                            ;   in Loop: Header=BB0_7082 Depth=1
	s_or_b32 exec_lo, exec_lo, s98
.LBB0_10845:                            ;   in Loop: Header=BB0_7082 Depth=1
	s_and_not1_saveexec_b32 s97, s97
; %bb.10846:                            ;   in Loop: Header=BB0_7082 Depth=1
	s_delay_alu instid0(VALU_DEP_1)
	v_add_nc_u32_e32 v9, 0x8000000, v9
; %bb.10847:                            ;   in Loop: Header=BB0_7082 Depth=1
	s_or_b32 exec_lo, exec_lo, s97
.LBB0_10848:                            ;   in Loop: Header=BB0_7082 Depth=1
	s_and_not1_saveexec_b32 s96, s96
; %bb.10849:                            ;   in Loop: Header=BB0_7082 Depth=1
	s_delay_alu instid0(VALU_DEP_1)
	v_add_nc_u32_e32 v9, 0xc000000, v9
; %bb.10850:                            ;   in Loop: Header=BB0_7082 Depth=1
	s_or_b32 exec_lo, exec_lo, s96
.LBB0_10851:                            ;   in Loop: Header=BB0_7082 Depth=1
	s_and_not1_saveexec_b32 s95, s95
; %bb.10852:                            ;   in Loop: Header=BB0_7082 Depth=1
	s_delay_alu instid0(VALU_DEP_1)
	v_add_nc_u32_e32 v9, 0x10000000, v9
; %bb.10853:                            ;   in Loop: Header=BB0_7082 Depth=1
	s_or_b32 exec_lo, exec_lo, s95
.LBB0_10854:                            ;   in Loop: Header=BB0_7082 Depth=1
	s_and_not1_saveexec_b32 s94, s94
; %bb.10855:                            ;   in Loop: Header=BB0_7082 Depth=1
	s_delay_alu instid0(VALU_DEP_1)
	v_add_nc_u32_e32 v9, 0x14000000, v9
; %bb.10856:                            ;   in Loop: Header=BB0_7082 Depth=1
	s_or_b32 exec_lo, exec_lo, s94
.LBB0_10857:                            ;   in Loop: Header=BB0_7082 Depth=1
	s_and_not1_saveexec_b32 s93, s93
; %bb.10858:                            ;   in Loop: Header=BB0_7082 Depth=1
	s_delay_alu instid0(VALU_DEP_1)
	v_add_nc_u32_e32 v9, 0x18000000, v9
; %bb.10859:                            ;   in Loop: Header=BB0_7082 Depth=1
	s_or_b32 exec_lo, exec_lo, s93
.LBB0_10860:                            ;   in Loop: Header=BB0_7082 Depth=1
	s_and_not1_saveexec_b32 s92, s92
; %bb.10861:                            ;   in Loop: Header=BB0_7082 Depth=1
	s_delay_alu instid0(VALU_DEP_1)
	v_add_nc_u32_e32 v9, 0x1c000000, v9
; %bb.10862:                            ;   in Loop: Header=BB0_7082 Depth=1
	s_or_b32 exec_lo, exec_lo, s92
.LBB0_10863:                            ;   in Loop: Header=BB0_7082 Depth=1
	s_and_not1_saveexec_b32 s91, s91
; %bb.10864:                            ;   in Loop: Header=BB0_7082 Depth=1
	s_delay_alu instid0(VALU_DEP_1)
	v_add_nc_u32_e32 v9, 0x20000000, v9
; %bb.10865:                            ;   in Loop: Header=BB0_7082 Depth=1
	s_or_b32 exec_lo, exec_lo, s91
.LBB0_10866:                            ;   in Loop: Header=BB0_7082 Depth=1
	s_and_not1_saveexec_b32 s90, s90
; %bb.10867:                            ;   in Loop: Header=BB0_7082 Depth=1
	s_delay_alu instid0(VALU_DEP_1)
	v_add_nc_u32_e32 v9, 0x24000000, v9
; %bb.10868:                            ;   in Loop: Header=BB0_7082 Depth=1
	s_or_b32 exec_lo, exec_lo, s90
.LBB0_10869:                            ;   in Loop: Header=BB0_7082 Depth=1
	s_and_not1_saveexec_b32 s89, s89
; %bb.10870:                            ;   in Loop: Header=BB0_7082 Depth=1
	s_delay_alu instid0(VALU_DEP_1)
	v_add_nc_u32_e32 v9, 0x28000000, v9
; %bb.10871:                            ;   in Loop: Header=BB0_7082 Depth=1
	s_or_b32 exec_lo, exec_lo, s89
.LBB0_10872:                            ;   in Loop: Header=BB0_7082 Depth=1
	s_and_not1_saveexec_b32 s88, s88
; %bb.10873:                            ;   in Loop: Header=BB0_7082 Depth=1
	s_delay_alu instid0(VALU_DEP_1)
	v_add_nc_u32_e32 v9, 0x2c000000, v9
; %bb.10874:                            ;   in Loop: Header=BB0_7082 Depth=1
	s_or_b32 exec_lo, exec_lo, s88
.LBB0_10875:                            ;   in Loop: Header=BB0_7082 Depth=1
	s_and_not1_saveexec_b32 s87, s87
; %bb.10876:                            ;   in Loop: Header=BB0_7082 Depth=1
	s_delay_alu instid0(VALU_DEP_1)
	v_add_nc_u32_e32 v9, 0x30000000, v9
; %bb.10877:                            ;   in Loop: Header=BB0_7082 Depth=1
	s_or_b32 exec_lo, exec_lo, s87
.LBB0_10878:                            ;   in Loop: Header=BB0_7082 Depth=1
	s_and_not1_saveexec_b32 s86, s86
; %bb.10879:                            ;   in Loop: Header=BB0_7082 Depth=1
	s_delay_alu instid0(VALU_DEP_1)
	v_add_nc_u32_e32 v9, 0x34000000, v9
; %bb.10880:                            ;   in Loop: Header=BB0_7082 Depth=1
	s_or_b32 exec_lo, exec_lo, s86
.LBB0_10881:                            ;   in Loop: Header=BB0_7082 Depth=1
	s_and_not1_saveexec_b32 s85, s85
; %bb.10882:                            ;   in Loop: Header=BB0_7082 Depth=1
	s_delay_alu instid0(VALU_DEP_1)
	v_add_nc_u32_e32 v9, 0x38000000, v9
; %bb.10883:                            ;   in Loop: Header=BB0_7082 Depth=1
	s_or_b32 exec_lo, exec_lo, s85
.LBB0_10884:                            ;   in Loop: Header=BB0_7082 Depth=1
	s_and_not1_saveexec_b32 s84, s84
; %bb.10885:                            ;   in Loop: Header=BB0_7082 Depth=1
	s_delay_alu instid0(VALU_DEP_1)
	v_add_nc_u32_e32 v9, 0x3c000000, v9
; %bb.10886:                            ;   in Loop: Header=BB0_7082 Depth=1
	s_or_b32 exec_lo, exec_lo, s84
.LBB0_10887:                            ;   in Loop: Header=BB0_7082 Depth=1
	s_and_not1_saveexec_b32 s83, s83
; %bb.10888:                            ;   in Loop: Header=BB0_7082 Depth=1
	s_delay_alu instid0(VALU_DEP_1)
	v_add_nc_u32_e32 v9, 2.0, v9
; %bb.10889:                            ;   in Loop: Header=BB0_7082 Depth=1
	s_or_b32 exec_lo, exec_lo, s83
.LBB0_10890:                            ;   in Loop: Header=BB0_7082 Depth=1
	s_and_not1_saveexec_b32 s82, s82
; %bb.10891:                            ;   in Loop: Header=BB0_7082 Depth=1
	s_delay_alu instid0(VALU_DEP_1)
	v_add_nc_u32_e32 v9, 0x44000000, v9
; %bb.10892:                            ;   in Loop: Header=BB0_7082 Depth=1
	s_or_b32 exec_lo, exec_lo, s82
.LBB0_10893:                            ;   in Loop: Header=BB0_7082 Depth=1
	s_and_not1_saveexec_b32 s81, s81
; %bb.10894:                            ;   in Loop: Header=BB0_7082 Depth=1
	s_delay_alu instid0(VALU_DEP_1)
	v_add_nc_u32_e32 v9, 0x48000000, v9
; %bb.10895:                            ;   in Loop: Header=BB0_7082 Depth=1
	s_or_b32 exec_lo, exec_lo, s81
.LBB0_10896:                            ;   in Loop: Header=BB0_7082 Depth=1
	s_and_not1_saveexec_b32 s80, s80
; %bb.10897:                            ;   in Loop: Header=BB0_7082 Depth=1
	s_delay_alu instid0(VALU_DEP_1)
	v_add_nc_u32_e32 v9, 0x4c000000, v9
; %bb.10898:                            ;   in Loop: Header=BB0_7082 Depth=1
	s_or_b32 exec_lo, exec_lo, s80
.LBB0_10899:                            ;   in Loop: Header=BB0_7082 Depth=1
	s_and_not1_saveexec_b32 s79, s79
; %bb.10900:                            ;   in Loop: Header=BB0_7082 Depth=1
	s_delay_alu instid0(VALU_DEP_1)
	v_add_nc_u32_e32 v9, 0x50000000, v9
; %bb.10901:                            ;   in Loop: Header=BB0_7082 Depth=1
	s_or_b32 exec_lo, exec_lo, s79
.LBB0_10902:                            ;   in Loop: Header=BB0_7082 Depth=1
	s_and_not1_saveexec_b32 s78, s78
; %bb.10903:                            ;   in Loop: Header=BB0_7082 Depth=1
	s_delay_alu instid0(VALU_DEP_1)
	v_add_nc_u32_e32 v9, 0x54000000, v9
; %bb.10904:                            ;   in Loop: Header=BB0_7082 Depth=1
	s_or_b32 exec_lo, exec_lo, s78
.LBB0_10905:                            ;   in Loop: Header=BB0_7082 Depth=1
	s_and_not1_saveexec_b32 s77, s77
; %bb.10906:                            ;   in Loop: Header=BB0_7082 Depth=1
	s_delay_alu instid0(VALU_DEP_1)
	v_add_nc_u32_e32 v9, 0x58000000, v9
; %bb.10907:                            ;   in Loop: Header=BB0_7082 Depth=1
	s_or_b32 exec_lo, exec_lo, s77
.LBB0_10908:                            ;   in Loop: Header=BB0_7082 Depth=1
	s_and_not1_saveexec_b32 s76, s76
; %bb.10909:                            ;   in Loop: Header=BB0_7082 Depth=1
	s_delay_alu instid0(VALU_DEP_1)
	v_add_nc_u32_e32 v9, 0x5c000000, v9
; %bb.10910:                            ;   in Loop: Header=BB0_7082 Depth=1
	s_or_b32 exec_lo, exec_lo, s76
.LBB0_10911:                            ;   in Loop: Header=BB0_7082 Depth=1
	s_and_not1_saveexec_b32 s75, s75
; %bb.10912:                            ;   in Loop: Header=BB0_7082 Depth=1
	s_delay_alu instid0(VALU_DEP_1)
	v_add_nc_u32_e32 v9, 0x60000000, v9
; %bb.10913:                            ;   in Loop: Header=BB0_7082 Depth=1
	s_or_b32 exec_lo, exec_lo, s75
.LBB0_10914:                            ;   in Loop: Header=BB0_7082 Depth=1
	s_and_not1_saveexec_b32 s74, s74
; %bb.10915:                            ;   in Loop: Header=BB0_7082 Depth=1
	s_delay_alu instid0(VALU_DEP_1)
	v_add_nc_u32_e32 v9, 0x64000000, v9
; %bb.10916:                            ;   in Loop: Header=BB0_7082 Depth=1
	s_or_b32 exec_lo, exec_lo, s74
.LBB0_10917:                            ;   in Loop: Header=BB0_7082 Depth=1
	s_and_not1_saveexec_b32 s73, s73
; %bb.10918:                            ;   in Loop: Header=BB0_7082 Depth=1
	s_delay_alu instid0(VALU_DEP_1)
	v_add_nc_u32_e32 v9, 0x68000000, v9
; %bb.10919:                            ;   in Loop: Header=BB0_7082 Depth=1
	s_or_b32 exec_lo, exec_lo, s73
.LBB0_10920:                            ;   in Loop: Header=BB0_7082 Depth=1
	s_and_not1_saveexec_b32 s72, s72
; %bb.10921:                            ;   in Loop: Header=BB0_7082 Depth=1
	s_delay_alu instid0(VALU_DEP_1)
	v_add_nc_u32_e32 v9, 0x6c000000, v9
; %bb.10922:                            ;   in Loop: Header=BB0_7082 Depth=1
	s_or_b32 exec_lo, exec_lo, s72
.LBB0_10923:                            ;   in Loop: Header=BB0_7082 Depth=1
	s_and_not1_saveexec_b32 s71, s71
; %bb.10924:                            ;   in Loop: Header=BB0_7082 Depth=1
	s_delay_alu instid0(VALU_DEP_1)
	v_add_nc_u32_e32 v9, 0x70000000, v9
; %bb.10925:                            ;   in Loop: Header=BB0_7082 Depth=1
	s_or_b32 exec_lo, exec_lo, s71
.LBB0_10926:                            ;   in Loop: Header=BB0_7082 Depth=1
	s_and_not1_saveexec_b32 s70, s70
; %bb.10927:                            ;   in Loop: Header=BB0_7082 Depth=1
	s_delay_alu instid0(VALU_DEP_1)
	v_add_nc_u32_e32 v9, 0x74000000, v9
; %bb.10928:                            ;   in Loop: Header=BB0_7082 Depth=1
	s_or_b32 exec_lo, exec_lo, s70
.LBB0_10929:                            ;   in Loop: Header=BB0_7082 Depth=1
	s_and_not1_saveexec_b32 s69, s69
; %bb.10930:                            ;   in Loop: Header=BB0_7082 Depth=1
	s_delay_alu instid0(VALU_DEP_1)
	v_add_nc_u32_e32 v9, 0x78000000, v9
; %bb.10931:                            ;   in Loop: Header=BB0_7082 Depth=1
	s_or_b32 exec_lo, exec_lo, s69
.LBB0_10932:                            ;   in Loop: Header=BB0_7082 Depth=1
	s_and_not1_saveexec_b32 s68, s68
; %bb.10933:                            ;   in Loop: Header=BB0_7082 Depth=1
	s_delay_alu instid0(VALU_DEP_1)
	v_add_nc_u32_e32 v9, 0x7c000000, v9
; %bb.10934:                            ;   in Loop: Header=BB0_7082 Depth=1
	s_or_b32 exec_lo, exec_lo, s68
	v_mov_b32_e32 v0, s62
	v_add3_u32 v11, v10, s63, 0x20000
	v_mov_b32_e32 v8, 0x7c
	s_mov_b32 s68, exec_lo
	ds_load_2addr_b64 v[12:15], v0 offset0:108 offset1:109
	ds_load_b64 v[16:17], v0 offset:880
	global_store_b32 v11, v9, s[34:35] scale_offset
	s_wait_dscnt 0x1
	v_mul_f64_e32 v[0:1], v[4:5], v[14:15]
	s_delay_alu instid0(VALU_DEP_1) | instskip(SKIP_1) | instid1(VALU_DEP_1)
	v_fmac_f64_e32 v[0:1], v[2:3], v[12:13]
	s_wait_dscnt 0x0
	v_fmac_f64_e32 v[0:1], v[6:7], v[16:17]
	s_wait_xcnt 0x0
	s_delay_alu instid0(VALU_DEP_1)
	v_cmpx_ngt_f64_e32 s[60:61], v[0:1]
	s_cbranch_execz .LBB0_10996
; %bb.10935:                            ;   in Loop: Header=BB0_7082 Depth=1
	v_mov_b32_e32 v8, 0x78
	s_mov_b32 s69, exec_lo
	v_cmpx_ngt_f64_e32 s[66:67], v[0:1]
	s_cbranch_execz .LBB0_10995
; %bb.10936:                            ;   in Loop: Header=BB0_7082 Depth=1
	v_mov_b32_e32 v8, 0x74
	s_mov_b32 s70, exec_lo
	;; [unrolled: 5-line block ×30, first 2 shown]
	v_cmpx_gt_f64_e32 s[36:37], v[0:1]
; %bb.10965:                            ;   in Loop: Header=BB0_7082 Depth=1
	v_mov_b32_e32 v8, 4
; %bb.10966:                            ;   in Loop: Header=BB0_7082 Depth=1
	s_or_b32 exec_lo, exec_lo, s98
.LBB0_10967:                            ;   in Loop: Header=BB0_7082 Depth=1
	s_delay_alu instid0(SALU_CYCLE_1)
	s_or_b32 exec_lo, exec_lo, s97
.LBB0_10968:                            ;   in Loop: Header=BB0_7082 Depth=1
	s_delay_alu instid0(SALU_CYCLE_1)
	s_or_b32 exec_lo, exec_lo, s96
.LBB0_10969:                            ;   in Loop: Header=BB0_7082 Depth=1
	s_delay_alu instid0(SALU_CYCLE_1)
	s_or_b32 exec_lo, exec_lo, s95
.LBB0_10970:                            ;   in Loop: Header=BB0_7082 Depth=1
	s_delay_alu instid0(SALU_CYCLE_1)
	s_or_b32 exec_lo, exec_lo, s94
.LBB0_10971:                            ;   in Loop: Header=BB0_7082 Depth=1
	s_delay_alu instid0(SALU_CYCLE_1)
	s_or_b32 exec_lo, exec_lo, s93
.LBB0_10972:                            ;   in Loop: Header=BB0_7082 Depth=1
	s_delay_alu instid0(SALU_CYCLE_1)
	s_or_b32 exec_lo, exec_lo, s92
.LBB0_10973:                            ;   in Loop: Header=BB0_7082 Depth=1
	s_delay_alu instid0(SALU_CYCLE_1)
	s_or_b32 exec_lo, exec_lo, s91
.LBB0_10974:                            ;   in Loop: Header=BB0_7082 Depth=1
	s_delay_alu instid0(SALU_CYCLE_1)
	s_or_b32 exec_lo, exec_lo, s90
.LBB0_10975:                            ;   in Loop: Header=BB0_7082 Depth=1
	s_delay_alu instid0(SALU_CYCLE_1)
	s_or_b32 exec_lo, exec_lo, s89
.LBB0_10976:                            ;   in Loop: Header=BB0_7082 Depth=1
	s_delay_alu instid0(SALU_CYCLE_1)
	s_or_b32 exec_lo, exec_lo, s88
.LBB0_10977:                            ;   in Loop: Header=BB0_7082 Depth=1
	s_delay_alu instid0(SALU_CYCLE_1)
	s_or_b32 exec_lo, exec_lo, s87
.LBB0_10978:                            ;   in Loop: Header=BB0_7082 Depth=1
	s_delay_alu instid0(SALU_CYCLE_1)
	s_or_b32 exec_lo, exec_lo, s86
.LBB0_10979:                            ;   in Loop: Header=BB0_7082 Depth=1
	s_delay_alu instid0(SALU_CYCLE_1)
	s_or_b32 exec_lo, exec_lo, s85
.LBB0_10980:                            ;   in Loop: Header=BB0_7082 Depth=1
	s_delay_alu instid0(SALU_CYCLE_1)
	s_or_b32 exec_lo, exec_lo, s84
.LBB0_10981:                            ;   in Loop: Header=BB0_7082 Depth=1
	s_delay_alu instid0(SALU_CYCLE_1)
	s_or_b32 exec_lo, exec_lo, s83
.LBB0_10982:                            ;   in Loop: Header=BB0_7082 Depth=1
	s_delay_alu instid0(SALU_CYCLE_1)
	s_or_b32 exec_lo, exec_lo, s82
.LBB0_10983:                            ;   in Loop: Header=BB0_7082 Depth=1
	s_delay_alu instid0(SALU_CYCLE_1)
	s_or_b32 exec_lo, exec_lo, s81
.LBB0_10984:                            ;   in Loop: Header=BB0_7082 Depth=1
	s_delay_alu instid0(SALU_CYCLE_1)
	s_or_b32 exec_lo, exec_lo, s80
.LBB0_10985:                            ;   in Loop: Header=BB0_7082 Depth=1
	s_delay_alu instid0(SALU_CYCLE_1)
	s_or_b32 exec_lo, exec_lo, s79
.LBB0_10986:                            ;   in Loop: Header=BB0_7082 Depth=1
	s_delay_alu instid0(SALU_CYCLE_1)
	s_or_b32 exec_lo, exec_lo, s78
.LBB0_10987:                            ;   in Loop: Header=BB0_7082 Depth=1
	s_delay_alu instid0(SALU_CYCLE_1)
	s_or_b32 exec_lo, exec_lo, s77
.LBB0_10988:                            ;   in Loop: Header=BB0_7082 Depth=1
	s_delay_alu instid0(SALU_CYCLE_1)
	s_or_b32 exec_lo, exec_lo, s76
.LBB0_10989:                            ;   in Loop: Header=BB0_7082 Depth=1
	s_delay_alu instid0(SALU_CYCLE_1)
	s_or_b32 exec_lo, exec_lo, s75
.LBB0_10990:                            ;   in Loop: Header=BB0_7082 Depth=1
	s_delay_alu instid0(SALU_CYCLE_1)
	s_or_b32 exec_lo, exec_lo, s74
.LBB0_10991:                            ;   in Loop: Header=BB0_7082 Depth=1
	s_delay_alu instid0(SALU_CYCLE_1)
	s_or_b32 exec_lo, exec_lo, s73
.LBB0_10992:                            ;   in Loop: Header=BB0_7082 Depth=1
	s_delay_alu instid0(SALU_CYCLE_1)
	s_or_b32 exec_lo, exec_lo, s72
.LBB0_10993:                            ;   in Loop: Header=BB0_7082 Depth=1
	s_delay_alu instid0(SALU_CYCLE_1)
	s_or_b32 exec_lo, exec_lo, s71
.LBB0_10994:                            ;   in Loop: Header=BB0_7082 Depth=1
	s_delay_alu instid0(SALU_CYCLE_1)
	s_or_b32 exec_lo, exec_lo, s70
.LBB0_10995:                            ;   in Loop: Header=BB0_7082 Depth=1
	s_delay_alu instid0(SALU_CYCLE_1)
	s_or_b32 exec_lo, exec_lo, s69
.LBB0_10996:                            ;   in Loop: Header=BB0_7082 Depth=1
	s_delay_alu instid0(SALU_CYCLE_1)
	s_or_b32 exec_lo, exec_lo, s68
	v_mov_b32_e32 v0, s62
	s_mov_b32 s68, exec_lo
	ds_load_2addr_b64 v[12:15], v0 offset0:111 offset1:112
	ds_load_b64 v[16:17], v0 offset:904
	s_wait_dscnt 0x1
	v_mul_f64_e32 v[0:1], v[4:5], v[14:15]
	s_delay_alu instid0(VALU_DEP_1) | instskip(SKIP_1) | instid1(VALU_DEP_1)
	v_fmac_f64_e32 v[0:1], v[2:3], v[12:13]
	s_wait_dscnt 0x0
	v_fmac_f64_e32 v[0:1], v[6:7], v[16:17]
	s_delay_alu instid0(VALU_DEP_1)
	v_cmpx_ngt_f64_e32 s[60:61], v[0:1]
	s_xor_b32 s68, exec_lo, s68
	s_cbranch_execz .LBB0_11116
; %bb.10997:                            ;   in Loop: Header=BB0_7082 Depth=1
	s_mov_b32 s69, exec_lo
	v_cmpx_ngt_f64_e32 s[66:67], v[0:1]
	s_xor_b32 s69, exec_lo, s69
	s_cbranch_execz .LBB0_11113
; %bb.10998:                            ;   in Loop: Header=BB0_7082 Depth=1
	s_mov_b32 s70, exec_lo
	;; [unrolled: 5-line block ×30, first 2 shown]
	v_cmpx_gt_f64_e32 s[36:37], v[0:1]
; %bb.11027:                            ;   in Loop: Header=BB0_7082 Depth=1
	v_or_b32_e32 v8, 0x400, v8
; %bb.11028:                            ;   in Loop: Header=BB0_7082 Depth=1
	s_or_b32 exec_lo, exec_lo, s98
.LBB0_11029:                            ;   in Loop: Header=BB0_7082 Depth=1
	s_and_not1_saveexec_b32 s97, s97
; %bb.11030:                            ;   in Loop: Header=BB0_7082 Depth=1
	s_delay_alu instid0(VALU_DEP_1)
	v_or_b32_e32 v8, 0x800, v8
; %bb.11031:                            ;   in Loop: Header=BB0_7082 Depth=1
	s_or_b32 exec_lo, exec_lo, s97
.LBB0_11032:                            ;   in Loop: Header=BB0_7082 Depth=1
	s_and_not1_saveexec_b32 s96, s96
; %bb.11033:                            ;   in Loop: Header=BB0_7082 Depth=1
	s_delay_alu instid0(VALU_DEP_1)
	v_or_b32_e32 v8, 0xc00, v8
; %bb.11034:                            ;   in Loop: Header=BB0_7082 Depth=1
	s_or_b32 exec_lo, exec_lo, s96
.LBB0_11035:                            ;   in Loop: Header=BB0_7082 Depth=1
	s_and_not1_saveexec_b32 s95, s95
; %bb.11036:                            ;   in Loop: Header=BB0_7082 Depth=1
	s_delay_alu instid0(VALU_DEP_1)
	v_or_b32_e32 v8, 0x1000, v8
; %bb.11037:                            ;   in Loop: Header=BB0_7082 Depth=1
	s_or_b32 exec_lo, exec_lo, s95
.LBB0_11038:                            ;   in Loop: Header=BB0_7082 Depth=1
	s_and_not1_saveexec_b32 s94, s94
; %bb.11039:                            ;   in Loop: Header=BB0_7082 Depth=1
	s_delay_alu instid0(VALU_DEP_1)
	v_or_b32_e32 v8, 0x1400, v8
; %bb.11040:                            ;   in Loop: Header=BB0_7082 Depth=1
	s_or_b32 exec_lo, exec_lo, s94
.LBB0_11041:                            ;   in Loop: Header=BB0_7082 Depth=1
	s_and_not1_saveexec_b32 s93, s93
; %bb.11042:                            ;   in Loop: Header=BB0_7082 Depth=1
	s_delay_alu instid0(VALU_DEP_1)
	v_or_b32_e32 v8, 0x1800, v8
; %bb.11043:                            ;   in Loop: Header=BB0_7082 Depth=1
	s_or_b32 exec_lo, exec_lo, s93
.LBB0_11044:                            ;   in Loop: Header=BB0_7082 Depth=1
	s_and_not1_saveexec_b32 s92, s92
; %bb.11045:                            ;   in Loop: Header=BB0_7082 Depth=1
	s_delay_alu instid0(VALU_DEP_1)
	v_or_b32_e32 v8, 0x1c00, v8
; %bb.11046:                            ;   in Loop: Header=BB0_7082 Depth=1
	s_or_b32 exec_lo, exec_lo, s92
.LBB0_11047:                            ;   in Loop: Header=BB0_7082 Depth=1
	s_and_not1_saveexec_b32 s91, s91
; %bb.11048:                            ;   in Loop: Header=BB0_7082 Depth=1
	s_delay_alu instid0(VALU_DEP_1)
	v_or_b32_e32 v8, 0x2000, v8
; %bb.11049:                            ;   in Loop: Header=BB0_7082 Depth=1
	s_or_b32 exec_lo, exec_lo, s91
.LBB0_11050:                            ;   in Loop: Header=BB0_7082 Depth=1
	s_and_not1_saveexec_b32 s90, s90
; %bb.11051:                            ;   in Loop: Header=BB0_7082 Depth=1
	s_delay_alu instid0(VALU_DEP_1)
	v_or_b32_e32 v8, 0x2400, v8
; %bb.11052:                            ;   in Loop: Header=BB0_7082 Depth=1
	s_or_b32 exec_lo, exec_lo, s90
.LBB0_11053:                            ;   in Loop: Header=BB0_7082 Depth=1
	s_and_not1_saveexec_b32 s89, s89
; %bb.11054:                            ;   in Loop: Header=BB0_7082 Depth=1
	s_delay_alu instid0(VALU_DEP_1)
	v_or_b32_e32 v8, 0x2800, v8
; %bb.11055:                            ;   in Loop: Header=BB0_7082 Depth=1
	s_or_b32 exec_lo, exec_lo, s89
.LBB0_11056:                            ;   in Loop: Header=BB0_7082 Depth=1
	s_and_not1_saveexec_b32 s88, s88
; %bb.11057:                            ;   in Loop: Header=BB0_7082 Depth=1
	s_delay_alu instid0(VALU_DEP_1)
	v_or_b32_e32 v8, 0x2c00, v8
; %bb.11058:                            ;   in Loop: Header=BB0_7082 Depth=1
	s_or_b32 exec_lo, exec_lo, s88
.LBB0_11059:                            ;   in Loop: Header=BB0_7082 Depth=1
	s_and_not1_saveexec_b32 s87, s87
; %bb.11060:                            ;   in Loop: Header=BB0_7082 Depth=1
	s_delay_alu instid0(VALU_DEP_1)
	v_or_b32_e32 v8, 0x3000, v8
; %bb.11061:                            ;   in Loop: Header=BB0_7082 Depth=1
	s_or_b32 exec_lo, exec_lo, s87
.LBB0_11062:                            ;   in Loop: Header=BB0_7082 Depth=1
	s_and_not1_saveexec_b32 s86, s86
; %bb.11063:                            ;   in Loop: Header=BB0_7082 Depth=1
	s_delay_alu instid0(VALU_DEP_1)
	v_or_b32_e32 v8, 0x3400, v8
; %bb.11064:                            ;   in Loop: Header=BB0_7082 Depth=1
	s_or_b32 exec_lo, exec_lo, s86
.LBB0_11065:                            ;   in Loop: Header=BB0_7082 Depth=1
	s_and_not1_saveexec_b32 s85, s85
; %bb.11066:                            ;   in Loop: Header=BB0_7082 Depth=1
	s_delay_alu instid0(VALU_DEP_1)
	v_or_b32_e32 v8, 0x3800, v8
; %bb.11067:                            ;   in Loop: Header=BB0_7082 Depth=1
	s_or_b32 exec_lo, exec_lo, s85
.LBB0_11068:                            ;   in Loop: Header=BB0_7082 Depth=1
	s_and_not1_saveexec_b32 s84, s84
; %bb.11069:                            ;   in Loop: Header=BB0_7082 Depth=1
	s_delay_alu instid0(VALU_DEP_1)
	v_or_b32_e32 v8, 0x3c00, v8
; %bb.11070:                            ;   in Loop: Header=BB0_7082 Depth=1
	s_or_b32 exec_lo, exec_lo, s84
.LBB0_11071:                            ;   in Loop: Header=BB0_7082 Depth=1
	s_and_not1_saveexec_b32 s83, s83
; %bb.11072:                            ;   in Loop: Header=BB0_7082 Depth=1
	s_delay_alu instid0(VALU_DEP_1)
	v_or_b32_e32 v8, 0x4000, v8
; %bb.11073:                            ;   in Loop: Header=BB0_7082 Depth=1
	s_or_b32 exec_lo, exec_lo, s83
.LBB0_11074:                            ;   in Loop: Header=BB0_7082 Depth=1
	s_and_not1_saveexec_b32 s82, s82
; %bb.11075:                            ;   in Loop: Header=BB0_7082 Depth=1
	s_delay_alu instid0(VALU_DEP_1)
	v_or_b32_e32 v8, 0x4400, v8
; %bb.11076:                            ;   in Loop: Header=BB0_7082 Depth=1
	s_or_b32 exec_lo, exec_lo, s82
.LBB0_11077:                            ;   in Loop: Header=BB0_7082 Depth=1
	s_and_not1_saveexec_b32 s81, s81
; %bb.11078:                            ;   in Loop: Header=BB0_7082 Depth=1
	s_delay_alu instid0(VALU_DEP_1)
	v_or_b32_e32 v8, 0x4800, v8
; %bb.11079:                            ;   in Loop: Header=BB0_7082 Depth=1
	s_or_b32 exec_lo, exec_lo, s81
.LBB0_11080:                            ;   in Loop: Header=BB0_7082 Depth=1
	s_and_not1_saveexec_b32 s80, s80
; %bb.11081:                            ;   in Loop: Header=BB0_7082 Depth=1
	s_delay_alu instid0(VALU_DEP_1)
	v_or_b32_e32 v8, 0x4c00, v8
; %bb.11082:                            ;   in Loop: Header=BB0_7082 Depth=1
	s_or_b32 exec_lo, exec_lo, s80
.LBB0_11083:                            ;   in Loop: Header=BB0_7082 Depth=1
	s_and_not1_saveexec_b32 s79, s79
; %bb.11084:                            ;   in Loop: Header=BB0_7082 Depth=1
	s_delay_alu instid0(VALU_DEP_1)
	v_or_b32_e32 v8, 0x5000, v8
; %bb.11085:                            ;   in Loop: Header=BB0_7082 Depth=1
	s_or_b32 exec_lo, exec_lo, s79
.LBB0_11086:                            ;   in Loop: Header=BB0_7082 Depth=1
	s_and_not1_saveexec_b32 s78, s78
; %bb.11087:                            ;   in Loop: Header=BB0_7082 Depth=1
	s_delay_alu instid0(VALU_DEP_1)
	v_or_b32_e32 v8, 0x5400, v8
; %bb.11088:                            ;   in Loop: Header=BB0_7082 Depth=1
	s_or_b32 exec_lo, exec_lo, s78
.LBB0_11089:                            ;   in Loop: Header=BB0_7082 Depth=1
	s_and_not1_saveexec_b32 s77, s77
; %bb.11090:                            ;   in Loop: Header=BB0_7082 Depth=1
	s_delay_alu instid0(VALU_DEP_1)
	v_or_b32_e32 v8, 0x5800, v8
; %bb.11091:                            ;   in Loop: Header=BB0_7082 Depth=1
	s_or_b32 exec_lo, exec_lo, s77
.LBB0_11092:                            ;   in Loop: Header=BB0_7082 Depth=1
	s_and_not1_saveexec_b32 s76, s76
; %bb.11093:                            ;   in Loop: Header=BB0_7082 Depth=1
	s_delay_alu instid0(VALU_DEP_1)
	v_or_b32_e32 v8, 0x5c00, v8
; %bb.11094:                            ;   in Loop: Header=BB0_7082 Depth=1
	s_or_b32 exec_lo, exec_lo, s76
.LBB0_11095:                            ;   in Loop: Header=BB0_7082 Depth=1
	s_and_not1_saveexec_b32 s75, s75
; %bb.11096:                            ;   in Loop: Header=BB0_7082 Depth=1
	s_delay_alu instid0(VALU_DEP_1)
	v_or_b32_e32 v8, 0x6000, v8
; %bb.11097:                            ;   in Loop: Header=BB0_7082 Depth=1
	s_or_b32 exec_lo, exec_lo, s75
.LBB0_11098:                            ;   in Loop: Header=BB0_7082 Depth=1
	s_and_not1_saveexec_b32 s74, s74
; %bb.11099:                            ;   in Loop: Header=BB0_7082 Depth=1
	s_delay_alu instid0(VALU_DEP_1)
	v_or_b32_e32 v8, 0x6400, v8
; %bb.11100:                            ;   in Loop: Header=BB0_7082 Depth=1
	s_or_b32 exec_lo, exec_lo, s74
.LBB0_11101:                            ;   in Loop: Header=BB0_7082 Depth=1
	s_and_not1_saveexec_b32 s73, s73
; %bb.11102:                            ;   in Loop: Header=BB0_7082 Depth=1
	s_delay_alu instid0(VALU_DEP_1)
	v_or_b32_e32 v8, 0x6800, v8
; %bb.11103:                            ;   in Loop: Header=BB0_7082 Depth=1
	s_or_b32 exec_lo, exec_lo, s73
.LBB0_11104:                            ;   in Loop: Header=BB0_7082 Depth=1
	s_and_not1_saveexec_b32 s72, s72
; %bb.11105:                            ;   in Loop: Header=BB0_7082 Depth=1
	s_delay_alu instid0(VALU_DEP_1)
	v_or_b32_e32 v8, 0x6c00, v8
; %bb.11106:                            ;   in Loop: Header=BB0_7082 Depth=1
	s_or_b32 exec_lo, exec_lo, s72
.LBB0_11107:                            ;   in Loop: Header=BB0_7082 Depth=1
	s_and_not1_saveexec_b32 s71, s71
; %bb.11108:                            ;   in Loop: Header=BB0_7082 Depth=1
	s_delay_alu instid0(VALU_DEP_1)
	v_or_b32_e32 v8, 0x7000, v8
; %bb.11109:                            ;   in Loop: Header=BB0_7082 Depth=1
	s_or_b32 exec_lo, exec_lo, s71
.LBB0_11110:                            ;   in Loop: Header=BB0_7082 Depth=1
	s_and_not1_saveexec_b32 s70, s70
; %bb.11111:                            ;   in Loop: Header=BB0_7082 Depth=1
	s_delay_alu instid0(VALU_DEP_1)
	v_or_b32_e32 v8, 0x7400, v8
; %bb.11112:                            ;   in Loop: Header=BB0_7082 Depth=1
	s_or_b32 exec_lo, exec_lo, s70
.LBB0_11113:                            ;   in Loop: Header=BB0_7082 Depth=1
	s_and_not1_saveexec_b32 s69, s69
; %bb.11114:                            ;   in Loop: Header=BB0_7082 Depth=1
	s_delay_alu instid0(VALU_DEP_1)
	v_or_b32_e32 v8, 0x7800, v8
; %bb.11115:                            ;   in Loop: Header=BB0_7082 Depth=1
	s_or_b32 exec_lo, exec_lo, s69
.LBB0_11116:                            ;   in Loop: Header=BB0_7082 Depth=1
	s_and_not1_saveexec_b32 s68, s68
; %bb.11117:                            ;   in Loop: Header=BB0_7082 Depth=1
	s_delay_alu instid0(VALU_DEP_1)
	v_or_b32_e32 v8, 0x7c00, v8
; %bb.11118:                            ;   in Loop: Header=BB0_7082 Depth=1
	s_or_b32 exec_lo, exec_lo, s68
	v_mov_b32_e32 v0, s62
	s_mov_b32 s68, exec_lo
	ds_load_2addr_b64 v[12:15], v0 offset0:114 offset1:115
	ds_load_b64 v[16:17], v0 offset:928
	s_wait_dscnt 0x1
	v_mul_f64_e32 v[0:1], v[4:5], v[14:15]
	s_delay_alu instid0(VALU_DEP_1) | instskip(SKIP_1) | instid1(VALU_DEP_1)
	v_fmac_f64_e32 v[0:1], v[2:3], v[12:13]
	s_wait_dscnt 0x0
	v_fmac_f64_e32 v[0:1], v[6:7], v[16:17]
	s_delay_alu instid0(VALU_DEP_1)
	v_cmpx_ngt_f64_e32 s[60:61], v[0:1]
	s_xor_b32 s68, exec_lo, s68
	s_cbranch_execz .LBB0_11238
; %bb.11119:                            ;   in Loop: Header=BB0_7082 Depth=1
	s_mov_b32 s69, exec_lo
	v_cmpx_ngt_f64_e32 s[66:67], v[0:1]
	s_xor_b32 s69, exec_lo, s69
	s_cbranch_execz .LBB0_11235
; %bb.11120:                            ;   in Loop: Header=BB0_7082 Depth=1
	s_mov_b32 s70, exec_lo
	;; [unrolled: 5-line block ×30, first 2 shown]
	v_cmpx_gt_f64_e32 s[36:37], v[0:1]
; %bb.11149:                            ;   in Loop: Header=BB0_7082 Depth=1
	v_add_nc_u32_e32 v8, 0x40000, v8
; %bb.11150:                            ;   in Loop: Header=BB0_7082 Depth=1
	s_or_b32 exec_lo, exec_lo, s98
.LBB0_11151:                            ;   in Loop: Header=BB0_7082 Depth=1
	s_and_not1_saveexec_b32 s97, s97
; %bb.11152:                            ;   in Loop: Header=BB0_7082 Depth=1
	s_delay_alu instid0(VALU_DEP_1)
	v_add_nc_u32_e32 v8, 0x80000, v8
; %bb.11153:                            ;   in Loop: Header=BB0_7082 Depth=1
	s_or_b32 exec_lo, exec_lo, s97
.LBB0_11154:                            ;   in Loop: Header=BB0_7082 Depth=1
	s_and_not1_saveexec_b32 s96, s96
; %bb.11155:                            ;   in Loop: Header=BB0_7082 Depth=1
	s_delay_alu instid0(VALU_DEP_1)
	v_add_nc_u32_e32 v8, 0xc0000, v8
; %bb.11156:                            ;   in Loop: Header=BB0_7082 Depth=1
	s_or_b32 exec_lo, exec_lo, s96
.LBB0_11157:                            ;   in Loop: Header=BB0_7082 Depth=1
	s_and_not1_saveexec_b32 s95, s95
; %bb.11158:                            ;   in Loop: Header=BB0_7082 Depth=1
	s_delay_alu instid0(VALU_DEP_1)
	v_add_nc_u32_e32 v8, 0x100000, v8
; %bb.11159:                            ;   in Loop: Header=BB0_7082 Depth=1
	s_or_b32 exec_lo, exec_lo, s95
.LBB0_11160:                            ;   in Loop: Header=BB0_7082 Depth=1
	s_and_not1_saveexec_b32 s94, s94
; %bb.11161:                            ;   in Loop: Header=BB0_7082 Depth=1
	s_delay_alu instid0(VALU_DEP_1)
	v_add_nc_u32_e32 v8, 0x140000, v8
; %bb.11162:                            ;   in Loop: Header=BB0_7082 Depth=1
	s_or_b32 exec_lo, exec_lo, s94
.LBB0_11163:                            ;   in Loop: Header=BB0_7082 Depth=1
	s_and_not1_saveexec_b32 s93, s93
; %bb.11164:                            ;   in Loop: Header=BB0_7082 Depth=1
	s_delay_alu instid0(VALU_DEP_1)
	v_add_nc_u32_e32 v8, 0x180000, v8
; %bb.11165:                            ;   in Loop: Header=BB0_7082 Depth=1
	s_or_b32 exec_lo, exec_lo, s93
.LBB0_11166:                            ;   in Loop: Header=BB0_7082 Depth=1
	s_and_not1_saveexec_b32 s92, s92
; %bb.11167:                            ;   in Loop: Header=BB0_7082 Depth=1
	s_delay_alu instid0(VALU_DEP_1)
	v_add_nc_u32_e32 v8, 0x1c0000, v8
; %bb.11168:                            ;   in Loop: Header=BB0_7082 Depth=1
	s_or_b32 exec_lo, exec_lo, s92
.LBB0_11169:                            ;   in Loop: Header=BB0_7082 Depth=1
	s_and_not1_saveexec_b32 s91, s91
; %bb.11170:                            ;   in Loop: Header=BB0_7082 Depth=1
	s_delay_alu instid0(VALU_DEP_1)
	v_add_nc_u32_e32 v8, 0x200000, v8
; %bb.11171:                            ;   in Loop: Header=BB0_7082 Depth=1
	s_or_b32 exec_lo, exec_lo, s91
.LBB0_11172:                            ;   in Loop: Header=BB0_7082 Depth=1
	s_and_not1_saveexec_b32 s90, s90
; %bb.11173:                            ;   in Loop: Header=BB0_7082 Depth=1
	s_delay_alu instid0(VALU_DEP_1)
	v_add_nc_u32_e32 v8, 0x240000, v8
; %bb.11174:                            ;   in Loop: Header=BB0_7082 Depth=1
	s_or_b32 exec_lo, exec_lo, s90
.LBB0_11175:                            ;   in Loop: Header=BB0_7082 Depth=1
	s_and_not1_saveexec_b32 s89, s89
; %bb.11176:                            ;   in Loop: Header=BB0_7082 Depth=1
	s_delay_alu instid0(VALU_DEP_1)
	v_add_nc_u32_e32 v8, 0x280000, v8
; %bb.11177:                            ;   in Loop: Header=BB0_7082 Depth=1
	s_or_b32 exec_lo, exec_lo, s89
.LBB0_11178:                            ;   in Loop: Header=BB0_7082 Depth=1
	s_and_not1_saveexec_b32 s88, s88
; %bb.11179:                            ;   in Loop: Header=BB0_7082 Depth=1
	s_delay_alu instid0(VALU_DEP_1)
	v_add_nc_u32_e32 v8, 0x2c0000, v8
; %bb.11180:                            ;   in Loop: Header=BB0_7082 Depth=1
	s_or_b32 exec_lo, exec_lo, s88
.LBB0_11181:                            ;   in Loop: Header=BB0_7082 Depth=1
	s_and_not1_saveexec_b32 s87, s87
; %bb.11182:                            ;   in Loop: Header=BB0_7082 Depth=1
	s_delay_alu instid0(VALU_DEP_1)
	v_add_nc_u32_e32 v8, 0x300000, v8
; %bb.11183:                            ;   in Loop: Header=BB0_7082 Depth=1
	s_or_b32 exec_lo, exec_lo, s87
.LBB0_11184:                            ;   in Loop: Header=BB0_7082 Depth=1
	s_and_not1_saveexec_b32 s86, s86
; %bb.11185:                            ;   in Loop: Header=BB0_7082 Depth=1
	s_delay_alu instid0(VALU_DEP_1)
	v_add_nc_u32_e32 v8, 0x340000, v8
; %bb.11186:                            ;   in Loop: Header=BB0_7082 Depth=1
	s_or_b32 exec_lo, exec_lo, s86
.LBB0_11187:                            ;   in Loop: Header=BB0_7082 Depth=1
	s_and_not1_saveexec_b32 s85, s85
; %bb.11188:                            ;   in Loop: Header=BB0_7082 Depth=1
	s_delay_alu instid0(VALU_DEP_1)
	v_add_nc_u32_e32 v8, 0x380000, v8
; %bb.11189:                            ;   in Loop: Header=BB0_7082 Depth=1
	s_or_b32 exec_lo, exec_lo, s85
.LBB0_11190:                            ;   in Loop: Header=BB0_7082 Depth=1
	s_and_not1_saveexec_b32 s84, s84
; %bb.11191:                            ;   in Loop: Header=BB0_7082 Depth=1
	s_delay_alu instid0(VALU_DEP_1)
	v_add_nc_u32_e32 v8, 0x3c0000, v8
; %bb.11192:                            ;   in Loop: Header=BB0_7082 Depth=1
	s_or_b32 exec_lo, exec_lo, s84
.LBB0_11193:                            ;   in Loop: Header=BB0_7082 Depth=1
	s_and_not1_saveexec_b32 s83, s83
; %bb.11194:                            ;   in Loop: Header=BB0_7082 Depth=1
	s_delay_alu instid0(VALU_DEP_1)
	v_add_nc_u32_e32 v8, 0x400000, v8
; %bb.11195:                            ;   in Loop: Header=BB0_7082 Depth=1
	s_or_b32 exec_lo, exec_lo, s83
.LBB0_11196:                            ;   in Loop: Header=BB0_7082 Depth=1
	s_and_not1_saveexec_b32 s82, s82
; %bb.11197:                            ;   in Loop: Header=BB0_7082 Depth=1
	s_delay_alu instid0(VALU_DEP_1)
	v_add_nc_u32_e32 v8, 0x440000, v8
; %bb.11198:                            ;   in Loop: Header=BB0_7082 Depth=1
	s_or_b32 exec_lo, exec_lo, s82
.LBB0_11199:                            ;   in Loop: Header=BB0_7082 Depth=1
	s_and_not1_saveexec_b32 s81, s81
; %bb.11200:                            ;   in Loop: Header=BB0_7082 Depth=1
	s_delay_alu instid0(VALU_DEP_1)
	v_add_nc_u32_e32 v8, 0x480000, v8
; %bb.11201:                            ;   in Loop: Header=BB0_7082 Depth=1
	s_or_b32 exec_lo, exec_lo, s81
.LBB0_11202:                            ;   in Loop: Header=BB0_7082 Depth=1
	s_and_not1_saveexec_b32 s80, s80
; %bb.11203:                            ;   in Loop: Header=BB0_7082 Depth=1
	s_delay_alu instid0(VALU_DEP_1)
	v_add_nc_u32_e32 v8, 0x4c0000, v8
; %bb.11204:                            ;   in Loop: Header=BB0_7082 Depth=1
	s_or_b32 exec_lo, exec_lo, s80
.LBB0_11205:                            ;   in Loop: Header=BB0_7082 Depth=1
	s_and_not1_saveexec_b32 s79, s79
; %bb.11206:                            ;   in Loop: Header=BB0_7082 Depth=1
	s_delay_alu instid0(VALU_DEP_1)
	v_add_nc_u32_e32 v8, 0x500000, v8
; %bb.11207:                            ;   in Loop: Header=BB0_7082 Depth=1
	s_or_b32 exec_lo, exec_lo, s79
.LBB0_11208:                            ;   in Loop: Header=BB0_7082 Depth=1
	s_and_not1_saveexec_b32 s78, s78
; %bb.11209:                            ;   in Loop: Header=BB0_7082 Depth=1
	s_delay_alu instid0(VALU_DEP_1)
	v_add_nc_u32_e32 v8, 0x540000, v8
; %bb.11210:                            ;   in Loop: Header=BB0_7082 Depth=1
	s_or_b32 exec_lo, exec_lo, s78
.LBB0_11211:                            ;   in Loop: Header=BB0_7082 Depth=1
	s_and_not1_saveexec_b32 s77, s77
; %bb.11212:                            ;   in Loop: Header=BB0_7082 Depth=1
	s_delay_alu instid0(VALU_DEP_1)
	v_add_nc_u32_e32 v8, 0x580000, v8
; %bb.11213:                            ;   in Loop: Header=BB0_7082 Depth=1
	s_or_b32 exec_lo, exec_lo, s77
.LBB0_11214:                            ;   in Loop: Header=BB0_7082 Depth=1
	s_and_not1_saveexec_b32 s76, s76
; %bb.11215:                            ;   in Loop: Header=BB0_7082 Depth=1
	s_delay_alu instid0(VALU_DEP_1)
	v_add_nc_u32_e32 v8, 0x5c0000, v8
; %bb.11216:                            ;   in Loop: Header=BB0_7082 Depth=1
	s_or_b32 exec_lo, exec_lo, s76
.LBB0_11217:                            ;   in Loop: Header=BB0_7082 Depth=1
	s_and_not1_saveexec_b32 s75, s75
; %bb.11218:                            ;   in Loop: Header=BB0_7082 Depth=1
	s_delay_alu instid0(VALU_DEP_1)
	v_add_nc_u32_e32 v8, 0x600000, v8
; %bb.11219:                            ;   in Loop: Header=BB0_7082 Depth=1
	s_or_b32 exec_lo, exec_lo, s75
.LBB0_11220:                            ;   in Loop: Header=BB0_7082 Depth=1
	s_and_not1_saveexec_b32 s74, s74
; %bb.11221:                            ;   in Loop: Header=BB0_7082 Depth=1
	s_delay_alu instid0(VALU_DEP_1)
	v_add_nc_u32_e32 v8, 0x640000, v8
; %bb.11222:                            ;   in Loop: Header=BB0_7082 Depth=1
	s_or_b32 exec_lo, exec_lo, s74
.LBB0_11223:                            ;   in Loop: Header=BB0_7082 Depth=1
	s_and_not1_saveexec_b32 s73, s73
; %bb.11224:                            ;   in Loop: Header=BB0_7082 Depth=1
	s_delay_alu instid0(VALU_DEP_1)
	v_add_nc_u32_e32 v8, 0x680000, v8
; %bb.11225:                            ;   in Loop: Header=BB0_7082 Depth=1
	s_or_b32 exec_lo, exec_lo, s73
.LBB0_11226:                            ;   in Loop: Header=BB0_7082 Depth=1
	s_and_not1_saveexec_b32 s72, s72
; %bb.11227:                            ;   in Loop: Header=BB0_7082 Depth=1
	s_delay_alu instid0(VALU_DEP_1)
	v_add_nc_u32_e32 v8, 0x6c0000, v8
; %bb.11228:                            ;   in Loop: Header=BB0_7082 Depth=1
	s_or_b32 exec_lo, exec_lo, s72
.LBB0_11229:                            ;   in Loop: Header=BB0_7082 Depth=1
	s_and_not1_saveexec_b32 s71, s71
; %bb.11230:                            ;   in Loop: Header=BB0_7082 Depth=1
	s_delay_alu instid0(VALU_DEP_1)
	v_add_nc_u32_e32 v8, 0x700000, v8
; %bb.11231:                            ;   in Loop: Header=BB0_7082 Depth=1
	s_or_b32 exec_lo, exec_lo, s71
.LBB0_11232:                            ;   in Loop: Header=BB0_7082 Depth=1
	s_and_not1_saveexec_b32 s70, s70
; %bb.11233:                            ;   in Loop: Header=BB0_7082 Depth=1
	s_delay_alu instid0(VALU_DEP_1)
	v_add_nc_u32_e32 v8, 0x740000, v8
; %bb.11234:                            ;   in Loop: Header=BB0_7082 Depth=1
	s_or_b32 exec_lo, exec_lo, s70
.LBB0_11235:                            ;   in Loop: Header=BB0_7082 Depth=1
	s_and_not1_saveexec_b32 s69, s69
; %bb.11236:                            ;   in Loop: Header=BB0_7082 Depth=1
	s_delay_alu instid0(VALU_DEP_1)
	v_add_nc_u32_e32 v8, 0x780000, v8
; %bb.11237:                            ;   in Loop: Header=BB0_7082 Depth=1
	s_or_b32 exec_lo, exec_lo, s69
.LBB0_11238:                            ;   in Loop: Header=BB0_7082 Depth=1
	s_and_not1_saveexec_b32 s68, s68
; %bb.11239:                            ;   in Loop: Header=BB0_7082 Depth=1
	s_delay_alu instid0(VALU_DEP_1)
	v_add_nc_u32_e32 v8, 0x7c0000, v8
; %bb.11240:                            ;   in Loop: Header=BB0_7082 Depth=1
	s_or_b32 exec_lo, exec_lo, s68
	v_mov_b32_e32 v0, s62
	s_mov_b32 s68, exec_lo
	ds_load_2addr_b64 v[12:15], v0 offset0:117 offset1:118
	ds_load_b64 v[16:17], v0 offset:952
	s_wait_dscnt 0x1
	v_mul_f64_e32 v[0:1], v[4:5], v[14:15]
	s_delay_alu instid0(VALU_DEP_1) | instskip(SKIP_1) | instid1(VALU_DEP_1)
	v_fmac_f64_e32 v[0:1], v[2:3], v[12:13]
	s_wait_dscnt 0x0
	v_fmac_f64_e32 v[0:1], v[6:7], v[16:17]
	s_delay_alu instid0(VALU_DEP_1)
	v_cmpx_ngt_f64_e32 s[60:61], v[0:1]
	s_xor_b32 s68, exec_lo, s68
	s_cbranch_execz .LBB0_11360
; %bb.11241:                            ;   in Loop: Header=BB0_7082 Depth=1
	s_mov_b32 s69, exec_lo
	v_cmpx_ngt_f64_e32 s[66:67], v[0:1]
	s_xor_b32 s69, exec_lo, s69
	s_cbranch_execz .LBB0_11357
; %bb.11242:                            ;   in Loop: Header=BB0_7082 Depth=1
	s_mov_b32 s70, exec_lo
	;; [unrolled: 5-line block ×30, first 2 shown]
	v_cmpx_gt_f64_e32 s[36:37], v[0:1]
; %bb.11271:                            ;   in Loop: Header=BB0_7082 Depth=1
	v_add_nc_u32_e32 v8, 0x4000000, v8
; %bb.11272:                            ;   in Loop: Header=BB0_7082 Depth=1
	s_or_b32 exec_lo, exec_lo, s98
.LBB0_11273:                            ;   in Loop: Header=BB0_7082 Depth=1
	s_and_not1_saveexec_b32 s97, s97
; %bb.11274:                            ;   in Loop: Header=BB0_7082 Depth=1
	s_delay_alu instid0(VALU_DEP_1)
	v_add_nc_u32_e32 v8, 0x8000000, v8
; %bb.11275:                            ;   in Loop: Header=BB0_7082 Depth=1
	s_or_b32 exec_lo, exec_lo, s97
.LBB0_11276:                            ;   in Loop: Header=BB0_7082 Depth=1
	s_and_not1_saveexec_b32 s96, s96
; %bb.11277:                            ;   in Loop: Header=BB0_7082 Depth=1
	s_delay_alu instid0(VALU_DEP_1)
	v_add_nc_u32_e32 v8, 0xc000000, v8
; %bb.11278:                            ;   in Loop: Header=BB0_7082 Depth=1
	s_or_b32 exec_lo, exec_lo, s96
.LBB0_11279:                            ;   in Loop: Header=BB0_7082 Depth=1
	s_and_not1_saveexec_b32 s95, s95
; %bb.11280:                            ;   in Loop: Header=BB0_7082 Depth=1
	s_delay_alu instid0(VALU_DEP_1)
	v_add_nc_u32_e32 v8, 0x10000000, v8
; %bb.11281:                            ;   in Loop: Header=BB0_7082 Depth=1
	s_or_b32 exec_lo, exec_lo, s95
.LBB0_11282:                            ;   in Loop: Header=BB0_7082 Depth=1
	s_and_not1_saveexec_b32 s94, s94
; %bb.11283:                            ;   in Loop: Header=BB0_7082 Depth=1
	s_delay_alu instid0(VALU_DEP_1)
	v_add_nc_u32_e32 v8, 0x14000000, v8
; %bb.11284:                            ;   in Loop: Header=BB0_7082 Depth=1
	s_or_b32 exec_lo, exec_lo, s94
.LBB0_11285:                            ;   in Loop: Header=BB0_7082 Depth=1
	s_and_not1_saveexec_b32 s93, s93
; %bb.11286:                            ;   in Loop: Header=BB0_7082 Depth=1
	s_delay_alu instid0(VALU_DEP_1)
	v_add_nc_u32_e32 v8, 0x18000000, v8
; %bb.11287:                            ;   in Loop: Header=BB0_7082 Depth=1
	s_or_b32 exec_lo, exec_lo, s93
.LBB0_11288:                            ;   in Loop: Header=BB0_7082 Depth=1
	s_and_not1_saveexec_b32 s92, s92
; %bb.11289:                            ;   in Loop: Header=BB0_7082 Depth=1
	s_delay_alu instid0(VALU_DEP_1)
	v_add_nc_u32_e32 v8, 0x1c000000, v8
; %bb.11290:                            ;   in Loop: Header=BB0_7082 Depth=1
	s_or_b32 exec_lo, exec_lo, s92
.LBB0_11291:                            ;   in Loop: Header=BB0_7082 Depth=1
	s_and_not1_saveexec_b32 s91, s91
; %bb.11292:                            ;   in Loop: Header=BB0_7082 Depth=1
	s_delay_alu instid0(VALU_DEP_1)
	v_add_nc_u32_e32 v8, 0x20000000, v8
; %bb.11293:                            ;   in Loop: Header=BB0_7082 Depth=1
	s_or_b32 exec_lo, exec_lo, s91
.LBB0_11294:                            ;   in Loop: Header=BB0_7082 Depth=1
	s_and_not1_saveexec_b32 s90, s90
; %bb.11295:                            ;   in Loop: Header=BB0_7082 Depth=1
	s_delay_alu instid0(VALU_DEP_1)
	v_add_nc_u32_e32 v8, 0x24000000, v8
; %bb.11296:                            ;   in Loop: Header=BB0_7082 Depth=1
	s_or_b32 exec_lo, exec_lo, s90
.LBB0_11297:                            ;   in Loop: Header=BB0_7082 Depth=1
	s_and_not1_saveexec_b32 s89, s89
; %bb.11298:                            ;   in Loop: Header=BB0_7082 Depth=1
	s_delay_alu instid0(VALU_DEP_1)
	v_add_nc_u32_e32 v8, 0x28000000, v8
; %bb.11299:                            ;   in Loop: Header=BB0_7082 Depth=1
	s_or_b32 exec_lo, exec_lo, s89
.LBB0_11300:                            ;   in Loop: Header=BB0_7082 Depth=1
	s_and_not1_saveexec_b32 s88, s88
; %bb.11301:                            ;   in Loop: Header=BB0_7082 Depth=1
	s_delay_alu instid0(VALU_DEP_1)
	v_add_nc_u32_e32 v8, 0x2c000000, v8
; %bb.11302:                            ;   in Loop: Header=BB0_7082 Depth=1
	s_or_b32 exec_lo, exec_lo, s88
.LBB0_11303:                            ;   in Loop: Header=BB0_7082 Depth=1
	s_and_not1_saveexec_b32 s87, s87
; %bb.11304:                            ;   in Loop: Header=BB0_7082 Depth=1
	s_delay_alu instid0(VALU_DEP_1)
	v_add_nc_u32_e32 v8, 0x30000000, v8
; %bb.11305:                            ;   in Loop: Header=BB0_7082 Depth=1
	s_or_b32 exec_lo, exec_lo, s87
.LBB0_11306:                            ;   in Loop: Header=BB0_7082 Depth=1
	s_and_not1_saveexec_b32 s86, s86
; %bb.11307:                            ;   in Loop: Header=BB0_7082 Depth=1
	s_delay_alu instid0(VALU_DEP_1)
	v_add_nc_u32_e32 v8, 0x34000000, v8
; %bb.11308:                            ;   in Loop: Header=BB0_7082 Depth=1
	s_or_b32 exec_lo, exec_lo, s86
.LBB0_11309:                            ;   in Loop: Header=BB0_7082 Depth=1
	s_and_not1_saveexec_b32 s85, s85
; %bb.11310:                            ;   in Loop: Header=BB0_7082 Depth=1
	s_delay_alu instid0(VALU_DEP_1)
	v_add_nc_u32_e32 v8, 0x38000000, v8
; %bb.11311:                            ;   in Loop: Header=BB0_7082 Depth=1
	s_or_b32 exec_lo, exec_lo, s85
.LBB0_11312:                            ;   in Loop: Header=BB0_7082 Depth=1
	s_and_not1_saveexec_b32 s84, s84
; %bb.11313:                            ;   in Loop: Header=BB0_7082 Depth=1
	s_delay_alu instid0(VALU_DEP_1)
	v_add_nc_u32_e32 v8, 0x3c000000, v8
; %bb.11314:                            ;   in Loop: Header=BB0_7082 Depth=1
	s_or_b32 exec_lo, exec_lo, s84
.LBB0_11315:                            ;   in Loop: Header=BB0_7082 Depth=1
	s_and_not1_saveexec_b32 s83, s83
; %bb.11316:                            ;   in Loop: Header=BB0_7082 Depth=1
	s_delay_alu instid0(VALU_DEP_1)
	v_add_nc_u32_e32 v8, 2.0, v8
; %bb.11317:                            ;   in Loop: Header=BB0_7082 Depth=1
	s_or_b32 exec_lo, exec_lo, s83
.LBB0_11318:                            ;   in Loop: Header=BB0_7082 Depth=1
	s_and_not1_saveexec_b32 s82, s82
; %bb.11319:                            ;   in Loop: Header=BB0_7082 Depth=1
	s_delay_alu instid0(VALU_DEP_1)
	v_add_nc_u32_e32 v8, 0x44000000, v8
; %bb.11320:                            ;   in Loop: Header=BB0_7082 Depth=1
	s_or_b32 exec_lo, exec_lo, s82
.LBB0_11321:                            ;   in Loop: Header=BB0_7082 Depth=1
	s_and_not1_saveexec_b32 s81, s81
; %bb.11322:                            ;   in Loop: Header=BB0_7082 Depth=1
	s_delay_alu instid0(VALU_DEP_1)
	v_add_nc_u32_e32 v8, 0x48000000, v8
; %bb.11323:                            ;   in Loop: Header=BB0_7082 Depth=1
	s_or_b32 exec_lo, exec_lo, s81
.LBB0_11324:                            ;   in Loop: Header=BB0_7082 Depth=1
	s_and_not1_saveexec_b32 s80, s80
; %bb.11325:                            ;   in Loop: Header=BB0_7082 Depth=1
	s_delay_alu instid0(VALU_DEP_1)
	v_add_nc_u32_e32 v8, 0x4c000000, v8
; %bb.11326:                            ;   in Loop: Header=BB0_7082 Depth=1
	s_or_b32 exec_lo, exec_lo, s80
.LBB0_11327:                            ;   in Loop: Header=BB0_7082 Depth=1
	s_and_not1_saveexec_b32 s79, s79
; %bb.11328:                            ;   in Loop: Header=BB0_7082 Depth=1
	s_delay_alu instid0(VALU_DEP_1)
	v_add_nc_u32_e32 v8, 0x50000000, v8
; %bb.11329:                            ;   in Loop: Header=BB0_7082 Depth=1
	s_or_b32 exec_lo, exec_lo, s79
.LBB0_11330:                            ;   in Loop: Header=BB0_7082 Depth=1
	s_and_not1_saveexec_b32 s78, s78
; %bb.11331:                            ;   in Loop: Header=BB0_7082 Depth=1
	s_delay_alu instid0(VALU_DEP_1)
	v_add_nc_u32_e32 v8, 0x54000000, v8
; %bb.11332:                            ;   in Loop: Header=BB0_7082 Depth=1
	s_or_b32 exec_lo, exec_lo, s78
.LBB0_11333:                            ;   in Loop: Header=BB0_7082 Depth=1
	s_and_not1_saveexec_b32 s77, s77
; %bb.11334:                            ;   in Loop: Header=BB0_7082 Depth=1
	s_delay_alu instid0(VALU_DEP_1)
	v_add_nc_u32_e32 v8, 0x58000000, v8
; %bb.11335:                            ;   in Loop: Header=BB0_7082 Depth=1
	s_or_b32 exec_lo, exec_lo, s77
.LBB0_11336:                            ;   in Loop: Header=BB0_7082 Depth=1
	s_and_not1_saveexec_b32 s76, s76
; %bb.11337:                            ;   in Loop: Header=BB0_7082 Depth=1
	s_delay_alu instid0(VALU_DEP_1)
	v_add_nc_u32_e32 v8, 0x5c000000, v8
; %bb.11338:                            ;   in Loop: Header=BB0_7082 Depth=1
	s_or_b32 exec_lo, exec_lo, s76
.LBB0_11339:                            ;   in Loop: Header=BB0_7082 Depth=1
	s_and_not1_saveexec_b32 s75, s75
; %bb.11340:                            ;   in Loop: Header=BB0_7082 Depth=1
	s_delay_alu instid0(VALU_DEP_1)
	v_add_nc_u32_e32 v8, 0x60000000, v8
; %bb.11341:                            ;   in Loop: Header=BB0_7082 Depth=1
	s_or_b32 exec_lo, exec_lo, s75
.LBB0_11342:                            ;   in Loop: Header=BB0_7082 Depth=1
	s_and_not1_saveexec_b32 s74, s74
; %bb.11343:                            ;   in Loop: Header=BB0_7082 Depth=1
	s_delay_alu instid0(VALU_DEP_1)
	v_add_nc_u32_e32 v8, 0x64000000, v8
; %bb.11344:                            ;   in Loop: Header=BB0_7082 Depth=1
	s_or_b32 exec_lo, exec_lo, s74
.LBB0_11345:                            ;   in Loop: Header=BB0_7082 Depth=1
	s_and_not1_saveexec_b32 s73, s73
; %bb.11346:                            ;   in Loop: Header=BB0_7082 Depth=1
	s_delay_alu instid0(VALU_DEP_1)
	v_add_nc_u32_e32 v8, 0x68000000, v8
; %bb.11347:                            ;   in Loop: Header=BB0_7082 Depth=1
	s_or_b32 exec_lo, exec_lo, s73
.LBB0_11348:                            ;   in Loop: Header=BB0_7082 Depth=1
	s_and_not1_saveexec_b32 s72, s72
; %bb.11349:                            ;   in Loop: Header=BB0_7082 Depth=1
	s_delay_alu instid0(VALU_DEP_1)
	v_add_nc_u32_e32 v8, 0x6c000000, v8
; %bb.11350:                            ;   in Loop: Header=BB0_7082 Depth=1
	s_or_b32 exec_lo, exec_lo, s72
.LBB0_11351:                            ;   in Loop: Header=BB0_7082 Depth=1
	s_and_not1_saveexec_b32 s71, s71
; %bb.11352:                            ;   in Loop: Header=BB0_7082 Depth=1
	s_delay_alu instid0(VALU_DEP_1)
	v_add_nc_u32_e32 v8, 0x70000000, v8
; %bb.11353:                            ;   in Loop: Header=BB0_7082 Depth=1
	s_or_b32 exec_lo, exec_lo, s71
.LBB0_11354:                            ;   in Loop: Header=BB0_7082 Depth=1
	s_and_not1_saveexec_b32 s70, s70
; %bb.11355:                            ;   in Loop: Header=BB0_7082 Depth=1
	s_delay_alu instid0(VALU_DEP_1)
	v_add_nc_u32_e32 v8, 0x74000000, v8
; %bb.11356:                            ;   in Loop: Header=BB0_7082 Depth=1
	s_or_b32 exec_lo, exec_lo, s70
.LBB0_11357:                            ;   in Loop: Header=BB0_7082 Depth=1
	s_and_not1_saveexec_b32 s69, s69
; %bb.11358:                            ;   in Loop: Header=BB0_7082 Depth=1
	s_delay_alu instid0(VALU_DEP_1)
	v_add_nc_u32_e32 v8, 0x78000000, v8
; %bb.11359:                            ;   in Loop: Header=BB0_7082 Depth=1
	s_or_b32 exec_lo, exec_lo, s69
.LBB0_11360:                            ;   in Loop: Header=BB0_7082 Depth=1
	s_and_not1_saveexec_b32 s68, s68
; %bb.11361:                            ;   in Loop: Header=BB0_7082 Depth=1
	s_delay_alu instid0(VALU_DEP_1)
	v_add_nc_u32_e32 v8, 0x7c000000, v8
; %bb.11362:                            ;   in Loop: Header=BB0_7082 Depth=1
	s_or_b32 exec_lo, exec_lo, s68
	v_dual_mov_b32 v0, s62 :: v_dual_mov_b32 v9, 0x7c
	v_add3_u32 v11, v10, s63, 0x24000
	s_mov_b32 s68, exec_lo
	ds_load_2addr_b64 v[12:15], v0 offset0:120 offset1:121
	ds_load_b64 v[16:17], v0 offset:976
	global_store_b32 v11, v8, s[34:35] scale_offset
	s_wait_dscnt 0x1
	v_mul_f64_e32 v[0:1], v[4:5], v[14:15]
	s_delay_alu instid0(VALU_DEP_1) | instskip(SKIP_1) | instid1(VALU_DEP_1)
	v_fmac_f64_e32 v[0:1], v[2:3], v[12:13]
	s_wait_dscnt 0x0
	v_fmac_f64_e32 v[0:1], v[6:7], v[16:17]
	s_wait_xcnt 0x0
	s_delay_alu instid0(VALU_DEP_1)
	v_cmpx_ngt_f64_e32 s[60:61], v[0:1]
	s_cbranch_execz .LBB0_11424
; %bb.11363:                            ;   in Loop: Header=BB0_7082 Depth=1
	v_mov_b32_e32 v9, 0x78
	s_mov_b32 s69, exec_lo
	v_cmpx_ngt_f64_e32 s[66:67], v[0:1]
	s_cbranch_execz .LBB0_11423
; %bb.11364:                            ;   in Loop: Header=BB0_7082 Depth=1
	v_mov_b32_e32 v9, 0x74
	s_mov_b32 s70, exec_lo
	;; [unrolled: 5-line block ×30, first 2 shown]
	v_cmpx_gt_f64_e32 s[36:37], v[0:1]
; %bb.11393:                            ;   in Loop: Header=BB0_7082 Depth=1
	v_mov_b32_e32 v9, 4
; %bb.11394:                            ;   in Loop: Header=BB0_7082 Depth=1
	s_or_b32 exec_lo, exec_lo, s98
.LBB0_11395:                            ;   in Loop: Header=BB0_7082 Depth=1
	s_delay_alu instid0(SALU_CYCLE_1)
	s_or_b32 exec_lo, exec_lo, s97
.LBB0_11396:                            ;   in Loop: Header=BB0_7082 Depth=1
	s_delay_alu instid0(SALU_CYCLE_1)
	s_or_b32 exec_lo, exec_lo, s96
.LBB0_11397:                            ;   in Loop: Header=BB0_7082 Depth=1
	s_delay_alu instid0(SALU_CYCLE_1)
	s_or_b32 exec_lo, exec_lo, s95
.LBB0_11398:                            ;   in Loop: Header=BB0_7082 Depth=1
	s_delay_alu instid0(SALU_CYCLE_1)
	s_or_b32 exec_lo, exec_lo, s94
.LBB0_11399:                            ;   in Loop: Header=BB0_7082 Depth=1
	s_delay_alu instid0(SALU_CYCLE_1)
	s_or_b32 exec_lo, exec_lo, s93
.LBB0_11400:                            ;   in Loop: Header=BB0_7082 Depth=1
	s_delay_alu instid0(SALU_CYCLE_1)
	s_or_b32 exec_lo, exec_lo, s92
.LBB0_11401:                            ;   in Loop: Header=BB0_7082 Depth=1
	s_delay_alu instid0(SALU_CYCLE_1)
	s_or_b32 exec_lo, exec_lo, s91
.LBB0_11402:                            ;   in Loop: Header=BB0_7082 Depth=1
	s_delay_alu instid0(SALU_CYCLE_1)
	s_or_b32 exec_lo, exec_lo, s90
.LBB0_11403:                            ;   in Loop: Header=BB0_7082 Depth=1
	s_delay_alu instid0(SALU_CYCLE_1)
	s_or_b32 exec_lo, exec_lo, s89
.LBB0_11404:                            ;   in Loop: Header=BB0_7082 Depth=1
	s_delay_alu instid0(SALU_CYCLE_1)
	s_or_b32 exec_lo, exec_lo, s88
.LBB0_11405:                            ;   in Loop: Header=BB0_7082 Depth=1
	s_delay_alu instid0(SALU_CYCLE_1)
	s_or_b32 exec_lo, exec_lo, s87
.LBB0_11406:                            ;   in Loop: Header=BB0_7082 Depth=1
	s_delay_alu instid0(SALU_CYCLE_1)
	s_or_b32 exec_lo, exec_lo, s86
.LBB0_11407:                            ;   in Loop: Header=BB0_7082 Depth=1
	s_delay_alu instid0(SALU_CYCLE_1)
	s_or_b32 exec_lo, exec_lo, s85
.LBB0_11408:                            ;   in Loop: Header=BB0_7082 Depth=1
	s_delay_alu instid0(SALU_CYCLE_1)
	s_or_b32 exec_lo, exec_lo, s84
.LBB0_11409:                            ;   in Loop: Header=BB0_7082 Depth=1
	s_delay_alu instid0(SALU_CYCLE_1)
	s_or_b32 exec_lo, exec_lo, s83
.LBB0_11410:                            ;   in Loop: Header=BB0_7082 Depth=1
	s_delay_alu instid0(SALU_CYCLE_1)
	s_or_b32 exec_lo, exec_lo, s82
.LBB0_11411:                            ;   in Loop: Header=BB0_7082 Depth=1
	s_delay_alu instid0(SALU_CYCLE_1)
	s_or_b32 exec_lo, exec_lo, s81
.LBB0_11412:                            ;   in Loop: Header=BB0_7082 Depth=1
	s_delay_alu instid0(SALU_CYCLE_1)
	s_or_b32 exec_lo, exec_lo, s80
.LBB0_11413:                            ;   in Loop: Header=BB0_7082 Depth=1
	s_delay_alu instid0(SALU_CYCLE_1)
	s_or_b32 exec_lo, exec_lo, s79
.LBB0_11414:                            ;   in Loop: Header=BB0_7082 Depth=1
	s_delay_alu instid0(SALU_CYCLE_1)
	s_or_b32 exec_lo, exec_lo, s78
.LBB0_11415:                            ;   in Loop: Header=BB0_7082 Depth=1
	s_delay_alu instid0(SALU_CYCLE_1)
	s_or_b32 exec_lo, exec_lo, s77
.LBB0_11416:                            ;   in Loop: Header=BB0_7082 Depth=1
	s_delay_alu instid0(SALU_CYCLE_1)
	s_or_b32 exec_lo, exec_lo, s76
.LBB0_11417:                            ;   in Loop: Header=BB0_7082 Depth=1
	s_delay_alu instid0(SALU_CYCLE_1)
	s_or_b32 exec_lo, exec_lo, s75
.LBB0_11418:                            ;   in Loop: Header=BB0_7082 Depth=1
	s_delay_alu instid0(SALU_CYCLE_1)
	s_or_b32 exec_lo, exec_lo, s74
.LBB0_11419:                            ;   in Loop: Header=BB0_7082 Depth=1
	s_delay_alu instid0(SALU_CYCLE_1)
	s_or_b32 exec_lo, exec_lo, s73
.LBB0_11420:                            ;   in Loop: Header=BB0_7082 Depth=1
	s_delay_alu instid0(SALU_CYCLE_1)
	s_or_b32 exec_lo, exec_lo, s72
.LBB0_11421:                            ;   in Loop: Header=BB0_7082 Depth=1
	s_delay_alu instid0(SALU_CYCLE_1)
	s_or_b32 exec_lo, exec_lo, s71
.LBB0_11422:                            ;   in Loop: Header=BB0_7082 Depth=1
	s_delay_alu instid0(SALU_CYCLE_1)
	s_or_b32 exec_lo, exec_lo, s70
.LBB0_11423:                            ;   in Loop: Header=BB0_7082 Depth=1
	s_delay_alu instid0(SALU_CYCLE_1)
	s_or_b32 exec_lo, exec_lo, s69
.LBB0_11424:                            ;   in Loop: Header=BB0_7082 Depth=1
	s_delay_alu instid0(SALU_CYCLE_1)
	s_or_b32 exec_lo, exec_lo, s68
	v_mov_b32_e32 v0, s62
	s_mov_b32 s68, exec_lo
	ds_load_2addr_b64 v[12:15], v0 offset0:123 offset1:124
	ds_load_b64 v[16:17], v0 offset:1000
	s_wait_dscnt 0x1
	v_mul_f64_e32 v[0:1], v[4:5], v[14:15]
	s_delay_alu instid0(VALU_DEP_1) | instskip(SKIP_1) | instid1(VALU_DEP_1)
	v_fmac_f64_e32 v[0:1], v[2:3], v[12:13]
	s_wait_dscnt 0x0
	v_fmac_f64_e32 v[0:1], v[6:7], v[16:17]
	s_delay_alu instid0(VALU_DEP_1)
	v_cmpx_ngt_f64_e32 s[60:61], v[0:1]
	s_xor_b32 s68, exec_lo, s68
	s_cbranch_execz .LBB0_11544
; %bb.11425:                            ;   in Loop: Header=BB0_7082 Depth=1
	s_mov_b32 s69, exec_lo
	v_cmpx_ngt_f64_e32 s[66:67], v[0:1]
	s_xor_b32 s69, exec_lo, s69
	s_cbranch_execz .LBB0_11541
; %bb.11426:                            ;   in Loop: Header=BB0_7082 Depth=1
	s_mov_b32 s70, exec_lo
	;; [unrolled: 5-line block ×30, first 2 shown]
	v_cmpx_gt_f64_e32 s[36:37], v[0:1]
; %bb.11455:                            ;   in Loop: Header=BB0_7082 Depth=1
	v_or_b32_e32 v9, 0x400, v9
; %bb.11456:                            ;   in Loop: Header=BB0_7082 Depth=1
	s_or_b32 exec_lo, exec_lo, s98
.LBB0_11457:                            ;   in Loop: Header=BB0_7082 Depth=1
	s_and_not1_saveexec_b32 s97, s97
; %bb.11458:                            ;   in Loop: Header=BB0_7082 Depth=1
	s_delay_alu instid0(VALU_DEP_1)
	v_or_b32_e32 v9, 0x800, v9
; %bb.11459:                            ;   in Loop: Header=BB0_7082 Depth=1
	s_or_b32 exec_lo, exec_lo, s97
.LBB0_11460:                            ;   in Loop: Header=BB0_7082 Depth=1
	s_and_not1_saveexec_b32 s96, s96
; %bb.11461:                            ;   in Loop: Header=BB0_7082 Depth=1
	s_delay_alu instid0(VALU_DEP_1)
	v_or_b32_e32 v9, 0xc00, v9
; %bb.11462:                            ;   in Loop: Header=BB0_7082 Depth=1
	s_or_b32 exec_lo, exec_lo, s96
.LBB0_11463:                            ;   in Loop: Header=BB0_7082 Depth=1
	s_and_not1_saveexec_b32 s95, s95
; %bb.11464:                            ;   in Loop: Header=BB0_7082 Depth=1
	s_delay_alu instid0(VALU_DEP_1)
	v_or_b32_e32 v9, 0x1000, v9
; %bb.11465:                            ;   in Loop: Header=BB0_7082 Depth=1
	s_or_b32 exec_lo, exec_lo, s95
.LBB0_11466:                            ;   in Loop: Header=BB0_7082 Depth=1
	s_and_not1_saveexec_b32 s94, s94
; %bb.11467:                            ;   in Loop: Header=BB0_7082 Depth=1
	s_delay_alu instid0(VALU_DEP_1)
	v_or_b32_e32 v9, 0x1400, v9
; %bb.11468:                            ;   in Loop: Header=BB0_7082 Depth=1
	s_or_b32 exec_lo, exec_lo, s94
.LBB0_11469:                            ;   in Loop: Header=BB0_7082 Depth=1
	s_and_not1_saveexec_b32 s93, s93
; %bb.11470:                            ;   in Loop: Header=BB0_7082 Depth=1
	s_delay_alu instid0(VALU_DEP_1)
	v_or_b32_e32 v9, 0x1800, v9
; %bb.11471:                            ;   in Loop: Header=BB0_7082 Depth=1
	s_or_b32 exec_lo, exec_lo, s93
.LBB0_11472:                            ;   in Loop: Header=BB0_7082 Depth=1
	s_and_not1_saveexec_b32 s92, s92
; %bb.11473:                            ;   in Loop: Header=BB0_7082 Depth=1
	s_delay_alu instid0(VALU_DEP_1)
	v_or_b32_e32 v9, 0x1c00, v9
; %bb.11474:                            ;   in Loop: Header=BB0_7082 Depth=1
	s_or_b32 exec_lo, exec_lo, s92
.LBB0_11475:                            ;   in Loop: Header=BB0_7082 Depth=1
	s_and_not1_saveexec_b32 s91, s91
; %bb.11476:                            ;   in Loop: Header=BB0_7082 Depth=1
	s_delay_alu instid0(VALU_DEP_1)
	v_or_b32_e32 v9, 0x2000, v9
; %bb.11477:                            ;   in Loop: Header=BB0_7082 Depth=1
	s_or_b32 exec_lo, exec_lo, s91
.LBB0_11478:                            ;   in Loop: Header=BB0_7082 Depth=1
	s_and_not1_saveexec_b32 s90, s90
; %bb.11479:                            ;   in Loop: Header=BB0_7082 Depth=1
	s_delay_alu instid0(VALU_DEP_1)
	v_or_b32_e32 v9, 0x2400, v9
; %bb.11480:                            ;   in Loop: Header=BB0_7082 Depth=1
	s_or_b32 exec_lo, exec_lo, s90
.LBB0_11481:                            ;   in Loop: Header=BB0_7082 Depth=1
	s_and_not1_saveexec_b32 s89, s89
; %bb.11482:                            ;   in Loop: Header=BB0_7082 Depth=1
	s_delay_alu instid0(VALU_DEP_1)
	v_or_b32_e32 v9, 0x2800, v9
; %bb.11483:                            ;   in Loop: Header=BB0_7082 Depth=1
	s_or_b32 exec_lo, exec_lo, s89
.LBB0_11484:                            ;   in Loop: Header=BB0_7082 Depth=1
	s_and_not1_saveexec_b32 s88, s88
; %bb.11485:                            ;   in Loop: Header=BB0_7082 Depth=1
	s_delay_alu instid0(VALU_DEP_1)
	v_or_b32_e32 v9, 0x2c00, v9
; %bb.11486:                            ;   in Loop: Header=BB0_7082 Depth=1
	s_or_b32 exec_lo, exec_lo, s88
.LBB0_11487:                            ;   in Loop: Header=BB0_7082 Depth=1
	s_and_not1_saveexec_b32 s87, s87
; %bb.11488:                            ;   in Loop: Header=BB0_7082 Depth=1
	s_delay_alu instid0(VALU_DEP_1)
	v_or_b32_e32 v9, 0x3000, v9
; %bb.11489:                            ;   in Loop: Header=BB0_7082 Depth=1
	s_or_b32 exec_lo, exec_lo, s87
.LBB0_11490:                            ;   in Loop: Header=BB0_7082 Depth=1
	s_and_not1_saveexec_b32 s86, s86
; %bb.11491:                            ;   in Loop: Header=BB0_7082 Depth=1
	s_delay_alu instid0(VALU_DEP_1)
	v_or_b32_e32 v9, 0x3400, v9
; %bb.11492:                            ;   in Loop: Header=BB0_7082 Depth=1
	s_or_b32 exec_lo, exec_lo, s86
.LBB0_11493:                            ;   in Loop: Header=BB0_7082 Depth=1
	s_and_not1_saveexec_b32 s85, s85
; %bb.11494:                            ;   in Loop: Header=BB0_7082 Depth=1
	s_delay_alu instid0(VALU_DEP_1)
	v_or_b32_e32 v9, 0x3800, v9
; %bb.11495:                            ;   in Loop: Header=BB0_7082 Depth=1
	s_or_b32 exec_lo, exec_lo, s85
.LBB0_11496:                            ;   in Loop: Header=BB0_7082 Depth=1
	s_and_not1_saveexec_b32 s84, s84
; %bb.11497:                            ;   in Loop: Header=BB0_7082 Depth=1
	s_delay_alu instid0(VALU_DEP_1)
	v_or_b32_e32 v9, 0x3c00, v9
; %bb.11498:                            ;   in Loop: Header=BB0_7082 Depth=1
	s_or_b32 exec_lo, exec_lo, s84
.LBB0_11499:                            ;   in Loop: Header=BB0_7082 Depth=1
	s_and_not1_saveexec_b32 s83, s83
; %bb.11500:                            ;   in Loop: Header=BB0_7082 Depth=1
	s_delay_alu instid0(VALU_DEP_1)
	v_or_b32_e32 v9, 0x4000, v9
; %bb.11501:                            ;   in Loop: Header=BB0_7082 Depth=1
	s_or_b32 exec_lo, exec_lo, s83
.LBB0_11502:                            ;   in Loop: Header=BB0_7082 Depth=1
	s_and_not1_saveexec_b32 s82, s82
; %bb.11503:                            ;   in Loop: Header=BB0_7082 Depth=1
	s_delay_alu instid0(VALU_DEP_1)
	v_or_b32_e32 v9, 0x4400, v9
; %bb.11504:                            ;   in Loop: Header=BB0_7082 Depth=1
	s_or_b32 exec_lo, exec_lo, s82
.LBB0_11505:                            ;   in Loop: Header=BB0_7082 Depth=1
	s_and_not1_saveexec_b32 s81, s81
; %bb.11506:                            ;   in Loop: Header=BB0_7082 Depth=1
	s_delay_alu instid0(VALU_DEP_1)
	v_or_b32_e32 v9, 0x4800, v9
; %bb.11507:                            ;   in Loop: Header=BB0_7082 Depth=1
	s_or_b32 exec_lo, exec_lo, s81
.LBB0_11508:                            ;   in Loop: Header=BB0_7082 Depth=1
	s_and_not1_saveexec_b32 s80, s80
; %bb.11509:                            ;   in Loop: Header=BB0_7082 Depth=1
	s_delay_alu instid0(VALU_DEP_1)
	v_or_b32_e32 v9, 0x4c00, v9
; %bb.11510:                            ;   in Loop: Header=BB0_7082 Depth=1
	s_or_b32 exec_lo, exec_lo, s80
.LBB0_11511:                            ;   in Loop: Header=BB0_7082 Depth=1
	s_and_not1_saveexec_b32 s79, s79
; %bb.11512:                            ;   in Loop: Header=BB0_7082 Depth=1
	s_delay_alu instid0(VALU_DEP_1)
	v_or_b32_e32 v9, 0x5000, v9
; %bb.11513:                            ;   in Loop: Header=BB0_7082 Depth=1
	s_or_b32 exec_lo, exec_lo, s79
.LBB0_11514:                            ;   in Loop: Header=BB0_7082 Depth=1
	s_and_not1_saveexec_b32 s78, s78
; %bb.11515:                            ;   in Loop: Header=BB0_7082 Depth=1
	s_delay_alu instid0(VALU_DEP_1)
	v_or_b32_e32 v9, 0x5400, v9
; %bb.11516:                            ;   in Loop: Header=BB0_7082 Depth=1
	s_or_b32 exec_lo, exec_lo, s78
.LBB0_11517:                            ;   in Loop: Header=BB0_7082 Depth=1
	s_and_not1_saveexec_b32 s77, s77
; %bb.11518:                            ;   in Loop: Header=BB0_7082 Depth=1
	s_delay_alu instid0(VALU_DEP_1)
	v_or_b32_e32 v9, 0x5800, v9
; %bb.11519:                            ;   in Loop: Header=BB0_7082 Depth=1
	s_or_b32 exec_lo, exec_lo, s77
.LBB0_11520:                            ;   in Loop: Header=BB0_7082 Depth=1
	s_and_not1_saveexec_b32 s76, s76
; %bb.11521:                            ;   in Loop: Header=BB0_7082 Depth=1
	s_delay_alu instid0(VALU_DEP_1)
	v_or_b32_e32 v9, 0x5c00, v9
; %bb.11522:                            ;   in Loop: Header=BB0_7082 Depth=1
	s_or_b32 exec_lo, exec_lo, s76
.LBB0_11523:                            ;   in Loop: Header=BB0_7082 Depth=1
	s_and_not1_saveexec_b32 s75, s75
; %bb.11524:                            ;   in Loop: Header=BB0_7082 Depth=1
	s_delay_alu instid0(VALU_DEP_1)
	v_or_b32_e32 v9, 0x6000, v9
; %bb.11525:                            ;   in Loop: Header=BB0_7082 Depth=1
	s_or_b32 exec_lo, exec_lo, s75
.LBB0_11526:                            ;   in Loop: Header=BB0_7082 Depth=1
	s_and_not1_saveexec_b32 s74, s74
; %bb.11527:                            ;   in Loop: Header=BB0_7082 Depth=1
	s_delay_alu instid0(VALU_DEP_1)
	v_or_b32_e32 v9, 0x6400, v9
; %bb.11528:                            ;   in Loop: Header=BB0_7082 Depth=1
	s_or_b32 exec_lo, exec_lo, s74
.LBB0_11529:                            ;   in Loop: Header=BB0_7082 Depth=1
	s_and_not1_saveexec_b32 s73, s73
; %bb.11530:                            ;   in Loop: Header=BB0_7082 Depth=1
	s_delay_alu instid0(VALU_DEP_1)
	v_or_b32_e32 v9, 0x6800, v9
; %bb.11531:                            ;   in Loop: Header=BB0_7082 Depth=1
	s_or_b32 exec_lo, exec_lo, s73
.LBB0_11532:                            ;   in Loop: Header=BB0_7082 Depth=1
	s_and_not1_saveexec_b32 s72, s72
; %bb.11533:                            ;   in Loop: Header=BB0_7082 Depth=1
	s_delay_alu instid0(VALU_DEP_1)
	v_or_b32_e32 v9, 0x6c00, v9
; %bb.11534:                            ;   in Loop: Header=BB0_7082 Depth=1
	s_or_b32 exec_lo, exec_lo, s72
.LBB0_11535:                            ;   in Loop: Header=BB0_7082 Depth=1
	s_and_not1_saveexec_b32 s71, s71
; %bb.11536:                            ;   in Loop: Header=BB0_7082 Depth=1
	s_delay_alu instid0(VALU_DEP_1)
	v_or_b32_e32 v9, 0x7000, v9
; %bb.11537:                            ;   in Loop: Header=BB0_7082 Depth=1
	s_or_b32 exec_lo, exec_lo, s71
.LBB0_11538:                            ;   in Loop: Header=BB0_7082 Depth=1
	s_and_not1_saveexec_b32 s70, s70
; %bb.11539:                            ;   in Loop: Header=BB0_7082 Depth=1
	s_delay_alu instid0(VALU_DEP_1)
	v_or_b32_e32 v9, 0x7400, v9
; %bb.11540:                            ;   in Loop: Header=BB0_7082 Depth=1
	s_or_b32 exec_lo, exec_lo, s70
.LBB0_11541:                            ;   in Loop: Header=BB0_7082 Depth=1
	s_and_not1_saveexec_b32 s69, s69
; %bb.11542:                            ;   in Loop: Header=BB0_7082 Depth=1
	s_delay_alu instid0(VALU_DEP_1)
	v_or_b32_e32 v9, 0x7800, v9
; %bb.11543:                            ;   in Loop: Header=BB0_7082 Depth=1
	s_or_b32 exec_lo, exec_lo, s69
.LBB0_11544:                            ;   in Loop: Header=BB0_7082 Depth=1
	s_and_not1_saveexec_b32 s68, s68
; %bb.11545:                            ;   in Loop: Header=BB0_7082 Depth=1
	s_delay_alu instid0(VALU_DEP_1)
	v_or_b32_e32 v9, 0x7c00, v9
; %bb.11546:                            ;   in Loop: Header=BB0_7082 Depth=1
	s_or_b32 exec_lo, exec_lo, s68
	v_mov_b32_e32 v0, s62
	s_mov_b32 s68, exec_lo
	ds_load_2addr_b64 v[12:15], v0 offset0:126 offset1:127
	ds_load_b64 v[16:17], v0 offset:1024
	s_wait_dscnt 0x1
	v_mul_f64_e32 v[0:1], v[4:5], v[14:15]
	s_delay_alu instid0(VALU_DEP_1) | instskip(SKIP_1) | instid1(VALU_DEP_1)
	v_fmac_f64_e32 v[0:1], v[2:3], v[12:13]
	s_wait_dscnt 0x0
	v_fmac_f64_e32 v[0:1], v[6:7], v[16:17]
	s_delay_alu instid0(VALU_DEP_1)
	v_cmpx_ngt_f64_e32 s[60:61], v[0:1]
	s_xor_b32 s68, exec_lo, s68
	s_cbranch_execz .LBB0_11666
; %bb.11547:                            ;   in Loop: Header=BB0_7082 Depth=1
	s_mov_b32 s69, exec_lo
	v_cmpx_ngt_f64_e32 s[66:67], v[0:1]
	s_xor_b32 s69, exec_lo, s69
	s_cbranch_execz .LBB0_11663
; %bb.11548:                            ;   in Loop: Header=BB0_7082 Depth=1
	s_mov_b32 s70, exec_lo
	v_cmpx_ngt_f64_e32 s[64:65], v[0:1]
	s_xor_b32 s70, exec_lo, s70
	s_cbranch_execz .LBB0_11660
; %bb.11549:                            ;   in Loop: Header=BB0_7082 Depth=1
	s_mov_b32 s71, exec_lo
	v_cmpx_ngt_f64_e32 s[58:59], v[0:1]
	s_xor_b32 s71, exec_lo, s71
	s_cbranch_execz .LBB0_11657
; %bb.11550:                            ;   in Loop: Header=BB0_7082 Depth=1
	s_mov_b32 s72, exec_lo
	v_cmpx_ngt_f64_e32 s[56:57], v[0:1]
	s_xor_b32 s72, exec_lo, s72
	s_cbranch_execz .LBB0_11654
; %bb.11551:                            ;   in Loop: Header=BB0_7082 Depth=1
	s_mov_b32 s73, exec_lo
	v_cmpx_ngt_f64_e32 s[54:55], v[0:1]
	s_xor_b32 s73, exec_lo, s73
	s_cbranch_execz .LBB0_11651
; %bb.11552:                            ;   in Loop: Header=BB0_7082 Depth=1
	s_mov_b32 s74, exec_lo
	v_cmpx_ngt_f64_e32 s[52:53], v[0:1]
	s_xor_b32 s74, exec_lo, s74
	s_cbranch_execz .LBB0_11648
; %bb.11553:                            ;   in Loop: Header=BB0_7082 Depth=1
	s_mov_b32 s75, exec_lo
	v_cmpx_ngt_f64_e32 s[14:15], v[0:1]
	s_xor_b32 s75, exec_lo, s75
	s_cbranch_execz .LBB0_11645
; %bb.11554:                            ;   in Loop: Header=BB0_7082 Depth=1
	s_mov_b32 s76, exec_lo
	v_cmpx_ngt_f64_e32 s[12:13], v[0:1]
	s_xor_b32 s76, exec_lo, s76
	s_cbranch_execz .LBB0_11642
; %bb.11555:                            ;   in Loop: Header=BB0_7082 Depth=1
	s_mov_b32 s77, exec_lo
	v_cmpx_ngt_f64_e32 s[10:11], v[0:1]
	s_xor_b32 s77, exec_lo, s77
	s_cbranch_execz .LBB0_11639
; %bb.11556:                            ;   in Loop: Header=BB0_7082 Depth=1
	s_mov_b32 s78, exec_lo
	v_cmpx_ngt_f64_e32 s[8:9], v[0:1]
	s_xor_b32 s78, exec_lo, s78
	s_cbranch_execz .LBB0_11636
; %bb.11557:                            ;   in Loop: Header=BB0_7082 Depth=1
	s_mov_b32 s79, exec_lo
	v_cmpx_ngt_f64_e32 s[6:7], v[0:1]
	s_xor_b32 s79, exec_lo, s79
	s_cbranch_execz .LBB0_11633
; %bb.11558:                            ;   in Loop: Header=BB0_7082 Depth=1
	s_mov_b32 s80, exec_lo
	v_cmpx_ngt_f64_e32 s[4:5], v[0:1]
	s_xor_b32 s80, exec_lo, s80
	s_cbranch_execz .LBB0_11630
; %bb.11559:                            ;   in Loop: Header=BB0_7082 Depth=1
	s_mov_b32 s81, exec_lo
	v_cmpx_ngt_f64_e32 s[2:3], v[0:1]
	s_xor_b32 s81, exec_lo, s81
	s_cbranch_execz .LBB0_11627
; %bb.11560:                            ;   in Loop: Header=BB0_7082 Depth=1
	s_mov_b32 s82, exec_lo
	v_cmpx_ngt_f64_e32 s[0:1], v[0:1]
	s_xor_b32 s82, exec_lo, s82
	s_cbranch_execz .LBB0_11624
; %bb.11561:                            ;   in Loop: Header=BB0_7082 Depth=1
	s_mov_b32 s83, exec_lo
	v_cmpx_ngt_f64_e32 s[30:31], v[0:1]
	s_xor_b32 s83, exec_lo, s83
	s_cbranch_execz .LBB0_11621
; %bb.11562:                            ;   in Loop: Header=BB0_7082 Depth=1
	s_mov_b32 s84, exec_lo
	v_cmpx_ngt_f64_e32 s[28:29], v[0:1]
	s_xor_b32 s84, exec_lo, s84
	s_cbranch_execz .LBB0_11618
; %bb.11563:                            ;   in Loop: Header=BB0_7082 Depth=1
	s_mov_b32 s85, exec_lo
	v_cmpx_ngt_f64_e32 s[26:27], v[0:1]
	s_xor_b32 s85, exec_lo, s85
	s_cbranch_execz .LBB0_11615
; %bb.11564:                            ;   in Loop: Header=BB0_7082 Depth=1
	s_mov_b32 s86, exec_lo
	v_cmpx_ngt_f64_e32 s[24:25], v[0:1]
	s_xor_b32 s86, exec_lo, s86
	s_cbranch_execz .LBB0_11612
; %bb.11565:                            ;   in Loop: Header=BB0_7082 Depth=1
	s_mov_b32 s87, exec_lo
	v_cmpx_ngt_f64_e32 s[22:23], v[0:1]
	s_xor_b32 s87, exec_lo, s87
	s_cbranch_execz .LBB0_11609
; %bb.11566:                            ;   in Loop: Header=BB0_7082 Depth=1
	s_mov_b32 s88, exec_lo
	v_cmpx_ngt_f64_e32 s[20:21], v[0:1]
	s_xor_b32 s88, exec_lo, s88
	s_cbranch_execz .LBB0_11606
; %bb.11567:                            ;   in Loop: Header=BB0_7082 Depth=1
	s_mov_b32 s89, exec_lo
	v_cmpx_ngt_f64_e32 s[18:19], v[0:1]
	s_xor_b32 s89, exec_lo, s89
	s_cbranch_execz .LBB0_11603
; %bb.11568:                            ;   in Loop: Header=BB0_7082 Depth=1
	s_mov_b32 s90, exec_lo
	v_cmpx_ngt_f64_e32 s[16:17], v[0:1]
	s_xor_b32 s90, exec_lo, s90
	s_cbranch_execz .LBB0_11600
; %bb.11569:                            ;   in Loop: Header=BB0_7082 Depth=1
	s_mov_b32 s91, exec_lo
	v_cmpx_ngt_f64_e32 s[50:51], v[0:1]
	s_xor_b32 s91, exec_lo, s91
	s_cbranch_execz .LBB0_11597
; %bb.11570:                            ;   in Loop: Header=BB0_7082 Depth=1
	s_mov_b32 s92, exec_lo
	v_cmpx_ngt_f64_e32 s[48:49], v[0:1]
	s_xor_b32 s92, exec_lo, s92
	s_cbranch_execz .LBB0_11594
; %bb.11571:                            ;   in Loop: Header=BB0_7082 Depth=1
	s_mov_b32 s93, exec_lo
	v_cmpx_ngt_f64_e32 s[46:47], v[0:1]
	s_xor_b32 s93, exec_lo, s93
	s_cbranch_execz .LBB0_11591
; %bb.11572:                            ;   in Loop: Header=BB0_7082 Depth=1
	s_mov_b32 s94, exec_lo
	v_cmpx_ngt_f64_e32 s[44:45], v[0:1]
	s_xor_b32 s94, exec_lo, s94
	s_cbranch_execz .LBB0_11588
; %bb.11573:                            ;   in Loop: Header=BB0_7082 Depth=1
	s_mov_b32 s95, exec_lo
	v_cmpx_ngt_f64_e32 s[42:43], v[0:1]
	s_xor_b32 s95, exec_lo, s95
	s_cbranch_execz .LBB0_11585
; %bb.11574:                            ;   in Loop: Header=BB0_7082 Depth=1
	s_mov_b32 s96, exec_lo
	v_cmpx_ngt_f64_e32 s[40:41], v[0:1]
	s_xor_b32 s96, exec_lo, s96
	s_cbranch_execz .LBB0_11582
; %bb.11575:                            ;   in Loop: Header=BB0_7082 Depth=1
	s_mov_b32 s97, exec_lo
	v_cmpx_ngt_f64_e32 s[38:39], v[0:1]
	s_xor_b32 s97, exec_lo, s97
	s_cbranch_execz .LBB0_11579
; %bb.11576:                            ;   in Loop: Header=BB0_7082 Depth=1
	s_mov_b32 s98, exec_lo
	v_cmpx_gt_f64_e32 s[36:37], v[0:1]
; %bb.11577:                            ;   in Loop: Header=BB0_7082 Depth=1
	v_add_nc_u32_e32 v9, 0x40000, v9
; %bb.11578:                            ;   in Loop: Header=BB0_7082 Depth=1
	s_or_b32 exec_lo, exec_lo, s98
.LBB0_11579:                            ;   in Loop: Header=BB0_7082 Depth=1
	s_and_not1_saveexec_b32 s97, s97
; %bb.11580:                            ;   in Loop: Header=BB0_7082 Depth=1
	s_delay_alu instid0(VALU_DEP_1)
	v_add_nc_u32_e32 v9, 0x80000, v9
; %bb.11581:                            ;   in Loop: Header=BB0_7082 Depth=1
	s_or_b32 exec_lo, exec_lo, s97
.LBB0_11582:                            ;   in Loop: Header=BB0_7082 Depth=1
	s_and_not1_saveexec_b32 s96, s96
; %bb.11583:                            ;   in Loop: Header=BB0_7082 Depth=1
	s_delay_alu instid0(VALU_DEP_1)
	v_add_nc_u32_e32 v9, 0xc0000, v9
; %bb.11584:                            ;   in Loop: Header=BB0_7082 Depth=1
	s_or_b32 exec_lo, exec_lo, s96
.LBB0_11585:                            ;   in Loop: Header=BB0_7082 Depth=1
	s_and_not1_saveexec_b32 s95, s95
; %bb.11586:                            ;   in Loop: Header=BB0_7082 Depth=1
	s_delay_alu instid0(VALU_DEP_1)
	v_add_nc_u32_e32 v9, 0x100000, v9
; %bb.11587:                            ;   in Loop: Header=BB0_7082 Depth=1
	s_or_b32 exec_lo, exec_lo, s95
.LBB0_11588:                            ;   in Loop: Header=BB0_7082 Depth=1
	s_and_not1_saveexec_b32 s94, s94
; %bb.11589:                            ;   in Loop: Header=BB0_7082 Depth=1
	s_delay_alu instid0(VALU_DEP_1)
	v_add_nc_u32_e32 v9, 0x140000, v9
; %bb.11590:                            ;   in Loop: Header=BB0_7082 Depth=1
	s_or_b32 exec_lo, exec_lo, s94
.LBB0_11591:                            ;   in Loop: Header=BB0_7082 Depth=1
	s_and_not1_saveexec_b32 s93, s93
; %bb.11592:                            ;   in Loop: Header=BB0_7082 Depth=1
	s_delay_alu instid0(VALU_DEP_1)
	v_add_nc_u32_e32 v9, 0x180000, v9
; %bb.11593:                            ;   in Loop: Header=BB0_7082 Depth=1
	s_or_b32 exec_lo, exec_lo, s93
.LBB0_11594:                            ;   in Loop: Header=BB0_7082 Depth=1
	s_and_not1_saveexec_b32 s92, s92
; %bb.11595:                            ;   in Loop: Header=BB0_7082 Depth=1
	s_delay_alu instid0(VALU_DEP_1)
	v_add_nc_u32_e32 v9, 0x1c0000, v9
; %bb.11596:                            ;   in Loop: Header=BB0_7082 Depth=1
	s_or_b32 exec_lo, exec_lo, s92
.LBB0_11597:                            ;   in Loop: Header=BB0_7082 Depth=1
	s_and_not1_saveexec_b32 s91, s91
; %bb.11598:                            ;   in Loop: Header=BB0_7082 Depth=1
	s_delay_alu instid0(VALU_DEP_1)
	v_add_nc_u32_e32 v9, 0x200000, v9
; %bb.11599:                            ;   in Loop: Header=BB0_7082 Depth=1
	s_or_b32 exec_lo, exec_lo, s91
.LBB0_11600:                            ;   in Loop: Header=BB0_7082 Depth=1
	s_and_not1_saveexec_b32 s90, s90
; %bb.11601:                            ;   in Loop: Header=BB0_7082 Depth=1
	s_delay_alu instid0(VALU_DEP_1)
	v_add_nc_u32_e32 v9, 0x240000, v9
; %bb.11602:                            ;   in Loop: Header=BB0_7082 Depth=1
	s_or_b32 exec_lo, exec_lo, s90
.LBB0_11603:                            ;   in Loop: Header=BB0_7082 Depth=1
	s_and_not1_saveexec_b32 s89, s89
; %bb.11604:                            ;   in Loop: Header=BB0_7082 Depth=1
	s_delay_alu instid0(VALU_DEP_1)
	v_add_nc_u32_e32 v9, 0x280000, v9
; %bb.11605:                            ;   in Loop: Header=BB0_7082 Depth=1
	s_or_b32 exec_lo, exec_lo, s89
.LBB0_11606:                            ;   in Loop: Header=BB0_7082 Depth=1
	s_and_not1_saveexec_b32 s88, s88
; %bb.11607:                            ;   in Loop: Header=BB0_7082 Depth=1
	s_delay_alu instid0(VALU_DEP_1)
	v_add_nc_u32_e32 v9, 0x2c0000, v9
; %bb.11608:                            ;   in Loop: Header=BB0_7082 Depth=1
	s_or_b32 exec_lo, exec_lo, s88
.LBB0_11609:                            ;   in Loop: Header=BB0_7082 Depth=1
	s_and_not1_saveexec_b32 s87, s87
; %bb.11610:                            ;   in Loop: Header=BB0_7082 Depth=1
	s_delay_alu instid0(VALU_DEP_1)
	v_add_nc_u32_e32 v9, 0x300000, v9
; %bb.11611:                            ;   in Loop: Header=BB0_7082 Depth=1
	s_or_b32 exec_lo, exec_lo, s87
.LBB0_11612:                            ;   in Loop: Header=BB0_7082 Depth=1
	s_and_not1_saveexec_b32 s86, s86
; %bb.11613:                            ;   in Loop: Header=BB0_7082 Depth=1
	s_delay_alu instid0(VALU_DEP_1)
	v_add_nc_u32_e32 v9, 0x340000, v9
; %bb.11614:                            ;   in Loop: Header=BB0_7082 Depth=1
	s_or_b32 exec_lo, exec_lo, s86
.LBB0_11615:                            ;   in Loop: Header=BB0_7082 Depth=1
	s_and_not1_saveexec_b32 s85, s85
; %bb.11616:                            ;   in Loop: Header=BB0_7082 Depth=1
	s_delay_alu instid0(VALU_DEP_1)
	v_add_nc_u32_e32 v9, 0x380000, v9
; %bb.11617:                            ;   in Loop: Header=BB0_7082 Depth=1
	s_or_b32 exec_lo, exec_lo, s85
.LBB0_11618:                            ;   in Loop: Header=BB0_7082 Depth=1
	s_and_not1_saveexec_b32 s84, s84
; %bb.11619:                            ;   in Loop: Header=BB0_7082 Depth=1
	s_delay_alu instid0(VALU_DEP_1)
	v_add_nc_u32_e32 v9, 0x3c0000, v9
; %bb.11620:                            ;   in Loop: Header=BB0_7082 Depth=1
	s_or_b32 exec_lo, exec_lo, s84
.LBB0_11621:                            ;   in Loop: Header=BB0_7082 Depth=1
	s_and_not1_saveexec_b32 s83, s83
; %bb.11622:                            ;   in Loop: Header=BB0_7082 Depth=1
	s_delay_alu instid0(VALU_DEP_1)
	v_add_nc_u32_e32 v9, 0x400000, v9
; %bb.11623:                            ;   in Loop: Header=BB0_7082 Depth=1
	s_or_b32 exec_lo, exec_lo, s83
.LBB0_11624:                            ;   in Loop: Header=BB0_7082 Depth=1
	s_and_not1_saveexec_b32 s82, s82
; %bb.11625:                            ;   in Loop: Header=BB0_7082 Depth=1
	s_delay_alu instid0(VALU_DEP_1)
	v_add_nc_u32_e32 v9, 0x440000, v9
; %bb.11626:                            ;   in Loop: Header=BB0_7082 Depth=1
	s_or_b32 exec_lo, exec_lo, s82
.LBB0_11627:                            ;   in Loop: Header=BB0_7082 Depth=1
	s_and_not1_saveexec_b32 s81, s81
; %bb.11628:                            ;   in Loop: Header=BB0_7082 Depth=1
	s_delay_alu instid0(VALU_DEP_1)
	v_add_nc_u32_e32 v9, 0x480000, v9
; %bb.11629:                            ;   in Loop: Header=BB0_7082 Depth=1
	s_or_b32 exec_lo, exec_lo, s81
.LBB0_11630:                            ;   in Loop: Header=BB0_7082 Depth=1
	s_and_not1_saveexec_b32 s80, s80
; %bb.11631:                            ;   in Loop: Header=BB0_7082 Depth=1
	s_delay_alu instid0(VALU_DEP_1)
	v_add_nc_u32_e32 v9, 0x4c0000, v9
; %bb.11632:                            ;   in Loop: Header=BB0_7082 Depth=1
	s_or_b32 exec_lo, exec_lo, s80
.LBB0_11633:                            ;   in Loop: Header=BB0_7082 Depth=1
	s_and_not1_saveexec_b32 s79, s79
; %bb.11634:                            ;   in Loop: Header=BB0_7082 Depth=1
	s_delay_alu instid0(VALU_DEP_1)
	v_add_nc_u32_e32 v9, 0x500000, v9
; %bb.11635:                            ;   in Loop: Header=BB0_7082 Depth=1
	s_or_b32 exec_lo, exec_lo, s79
.LBB0_11636:                            ;   in Loop: Header=BB0_7082 Depth=1
	s_and_not1_saveexec_b32 s78, s78
; %bb.11637:                            ;   in Loop: Header=BB0_7082 Depth=1
	s_delay_alu instid0(VALU_DEP_1)
	v_add_nc_u32_e32 v9, 0x540000, v9
; %bb.11638:                            ;   in Loop: Header=BB0_7082 Depth=1
	s_or_b32 exec_lo, exec_lo, s78
.LBB0_11639:                            ;   in Loop: Header=BB0_7082 Depth=1
	s_and_not1_saveexec_b32 s77, s77
; %bb.11640:                            ;   in Loop: Header=BB0_7082 Depth=1
	s_delay_alu instid0(VALU_DEP_1)
	v_add_nc_u32_e32 v9, 0x580000, v9
; %bb.11641:                            ;   in Loop: Header=BB0_7082 Depth=1
	s_or_b32 exec_lo, exec_lo, s77
.LBB0_11642:                            ;   in Loop: Header=BB0_7082 Depth=1
	s_and_not1_saveexec_b32 s76, s76
; %bb.11643:                            ;   in Loop: Header=BB0_7082 Depth=1
	s_delay_alu instid0(VALU_DEP_1)
	v_add_nc_u32_e32 v9, 0x5c0000, v9
; %bb.11644:                            ;   in Loop: Header=BB0_7082 Depth=1
	s_or_b32 exec_lo, exec_lo, s76
.LBB0_11645:                            ;   in Loop: Header=BB0_7082 Depth=1
	s_and_not1_saveexec_b32 s75, s75
; %bb.11646:                            ;   in Loop: Header=BB0_7082 Depth=1
	s_delay_alu instid0(VALU_DEP_1)
	v_add_nc_u32_e32 v9, 0x600000, v9
; %bb.11647:                            ;   in Loop: Header=BB0_7082 Depth=1
	s_or_b32 exec_lo, exec_lo, s75
.LBB0_11648:                            ;   in Loop: Header=BB0_7082 Depth=1
	s_and_not1_saveexec_b32 s74, s74
; %bb.11649:                            ;   in Loop: Header=BB0_7082 Depth=1
	s_delay_alu instid0(VALU_DEP_1)
	v_add_nc_u32_e32 v9, 0x640000, v9
; %bb.11650:                            ;   in Loop: Header=BB0_7082 Depth=1
	s_or_b32 exec_lo, exec_lo, s74
.LBB0_11651:                            ;   in Loop: Header=BB0_7082 Depth=1
	s_and_not1_saveexec_b32 s73, s73
; %bb.11652:                            ;   in Loop: Header=BB0_7082 Depth=1
	s_delay_alu instid0(VALU_DEP_1)
	v_add_nc_u32_e32 v9, 0x680000, v9
; %bb.11653:                            ;   in Loop: Header=BB0_7082 Depth=1
	s_or_b32 exec_lo, exec_lo, s73
.LBB0_11654:                            ;   in Loop: Header=BB0_7082 Depth=1
	s_and_not1_saveexec_b32 s72, s72
; %bb.11655:                            ;   in Loop: Header=BB0_7082 Depth=1
	s_delay_alu instid0(VALU_DEP_1)
	v_add_nc_u32_e32 v9, 0x6c0000, v9
; %bb.11656:                            ;   in Loop: Header=BB0_7082 Depth=1
	s_or_b32 exec_lo, exec_lo, s72
.LBB0_11657:                            ;   in Loop: Header=BB0_7082 Depth=1
	s_and_not1_saveexec_b32 s71, s71
; %bb.11658:                            ;   in Loop: Header=BB0_7082 Depth=1
	s_delay_alu instid0(VALU_DEP_1)
	v_add_nc_u32_e32 v9, 0x700000, v9
; %bb.11659:                            ;   in Loop: Header=BB0_7082 Depth=1
	s_or_b32 exec_lo, exec_lo, s71
.LBB0_11660:                            ;   in Loop: Header=BB0_7082 Depth=1
	s_and_not1_saveexec_b32 s70, s70
; %bb.11661:                            ;   in Loop: Header=BB0_7082 Depth=1
	s_delay_alu instid0(VALU_DEP_1)
	v_add_nc_u32_e32 v9, 0x740000, v9
; %bb.11662:                            ;   in Loop: Header=BB0_7082 Depth=1
	s_or_b32 exec_lo, exec_lo, s70
.LBB0_11663:                            ;   in Loop: Header=BB0_7082 Depth=1
	s_and_not1_saveexec_b32 s69, s69
; %bb.11664:                            ;   in Loop: Header=BB0_7082 Depth=1
	s_delay_alu instid0(VALU_DEP_1)
	v_add_nc_u32_e32 v9, 0x780000, v9
; %bb.11665:                            ;   in Loop: Header=BB0_7082 Depth=1
	s_or_b32 exec_lo, exec_lo, s69
.LBB0_11666:                            ;   in Loop: Header=BB0_7082 Depth=1
	s_and_not1_saveexec_b32 s68, s68
; %bb.11667:                            ;   in Loop: Header=BB0_7082 Depth=1
	s_delay_alu instid0(VALU_DEP_1)
	v_add_nc_u32_e32 v9, 0x7c0000, v9
; %bb.11668:                            ;   in Loop: Header=BB0_7082 Depth=1
	s_or_b32 exec_lo, exec_lo, s68
	v_mov_b32_e32 v0, s62
	s_mov_b32 s68, exec_lo
	ds_load_2addr_b64 v[12:15], v0 offset0:129 offset1:130
	ds_load_b64 v[16:17], v0 offset:1048
	s_wait_dscnt 0x1
	v_mul_f64_e32 v[0:1], v[4:5], v[14:15]
	s_delay_alu instid0(VALU_DEP_1) | instskip(SKIP_1) | instid1(VALU_DEP_1)
	v_fmac_f64_e32 v[0:1], v[2:3], v[12:13]
	s_wait_dscnt 0x0
	v_fmac_f64_e32 v[0:1], v[6:7], v[16:17]
	s_delay_alu instid0(VALU_DEP_1)
	v_cmpx_ngt_f64_e32 s[60:61], v[0:1]
	s_xor_b32 s68, exec_lo, s68
	s_cbranch_execz .LBB0_11788
; %bb.11669:                            ;   in Loop: Header=BB0_7082 Depth=1
	s_mov_b32 s69, exec_lo
	v_cmpx_ngt_f64_e32 s[66:67], v[0:1]
	s_xor_b32 s69, exec_lo, s69
	s_cbranch_execz .LBB0_11785
; %bb.11670:                            ;   in Loop: Header=BB0_7082 Depth=1
	s_mov_b32 s70, exec_lo
	;; [unrolled: 5-line block ×30, first 2 shown]
	v_cmpx_gt_f64_e32 s[36:37], v[0:1]
; %bb.11699:                            ;   in Loop: Header=BB0_7082 Depth=1
	v_add_nc_u32_e32 v9, 0x4000000, v9
; %bb.11700:                            ;   in Loop: Header=BB0_7082 Depth=1
	s_or_b32 exec_lo, exec_lo, s98
.LBB0_11701:                            ;   in Loop: Header=BB0_7082 Depth=1
	s_and_not1_saveexec_b32 s97, s97
; %bb.11702:                            ;   in Loop: Header=BB0_7082 Depth=1
	s_delay_alu instid0(VALU_DEP_1)
	v_add_nc_u32_e32 v9, 0x8000000, v9
; %bb.11703:                            ;   in Loop: Header=BB0_7082 Depth=1
	s_or_b32 exec_lo, exec_lo, s97
.LBB0_11704:                            ;   in Loop: Header=BB0_7082 Depth=1
	s_and_not1_saveexec_b32 s96, s96
; %bb.11705:                            ;   in Loop: Header=BB0_7082 Depth=1
	s_delay_alu instid0(VALU_DEP_1)
	v_add_nc_u32_e32 v9, 0xc000000, v9
; %bb.11706:                            ;   in Loop: Header=BB0_7082 Depth=1
	s_or_b32 exec_lo, exec_lo, s96
.LBB0_11707:                            ;   in Loop: Header=BB0_7082 Depth=1
	s_and_not1_saveexec_b32 s95, s95
; %bb.11708:                            ;   in Loop: Header=BB0_7082 Depth=1
	s_delay_alu instid0(VALU_DEP_1)
	v_add_nc_u32_e32 v9, 0x10000000, v9
; %bb.11709:                            ;   in Loop: Header=BB0_7082 Depth=1
	s_or_b32 exec_lo, exec_lo, s95
.LBB0_11710:                            ;   in Loop: Header=BB0_7082 Depth=1
	s_and_not1_saveexec_b32 s94, s94
; %bb.11711:                            ;   in Loop: Header=BB0_7082 Depth=1
	s_delay_alu instid0(VALU_DEP_1)
	v_add_nc_u32_e32 v9, 0x14000000, v9
; %bb.11712:                            ;   in Loop: Header=BB0_7082 Depth=1
	s_or_b32 exec_lo, exec_lo, s94
.LBB0_11713:                            ;   in Loop: Header=BB0_7082 Depth=1
	s_and_not1_saveexec_b32 s93, s93
; %bb.11714:                            ;   in Loop: Header=BB0_7082 Depth=1
	s_delay_alu instid0(VALU_DEP_1)
	v_add_nc_u32_e32 v9, 0x18000000, v9
; %bb.11715:                            ;   in Loop: Header=BB0_7082 Depth=1
	s_or_b32 exec_lo, exec_lo, s93
.LBB0_11716:                            ;   in Loop: Header=BB0_7082 Depth=1
	s_and_not1_saveexec_b32 s92, s92
; %bb.11717:                            ;   in Loop: Header=BB0_7082 Depth=1
	s_delay_alu instid0(VALU_DEP_1)
	v_add_nc_u32_e32 v9, 0x1c000000, v9
; %bb.11718:                            ;   in Loop: Header=BB0_7082 Depth=1
	s_or_b32 exec_lo, exec_lo, s92
.LBB0_11719:                            ;   in Loop: Header=BB0_7082 Depth=1
	s_and_not1_saveexec_b32 s91, s91
; %bb.11720:                            ;   in Loop: Header=BB0_7082 Depth=1
	s_delay_alu instid0(VALU_DEP_1)
	v_add_nc_u32_e32 v9, 0x20000000, v9
; %bb.11721:                            ;   in Loop: Header=BB0_7082 Depth=1
	s_or_b32 exec_lo, exec_lo, s91
.LBB0_11722:                            ;   in Loop: Header=BB0_7082 Depth=1
	s_and_not1_saveexec_b32 s90, s90
; %bb.11723:                            ;   in Loop: Header=BB0_7082 Depth=1
	s_delay_alu instid0(VALU_DEP_1)
	v_add_nc_u32_e32 v9, 0x24000000, v9
; %bb.11724:                            ;   in Loop: Header=BB0_7082 Depth=1
	s_or_b32 exec_lo, exec_lo, s90
.LBB0_11725:                            ;   in Loop: Header=BB0_7082 Depth=1
	s_and_not1_saveexec_b32 s89, s89
; %bb.11726:                            ;   in Loop: Header=BB0_7082 Depth=1
	s_delay_alu instid0(VALU_DEP_1)
	v_add_nc_u32_e32 v9, 0x28000000, v9
; %bb.11727:                            ;   in Loop: Header=BB0_7082 Depth=1
	s_or_b32 exec_lo, exec_lo, s89
.LBB0_11728:                            ;   in Loop: Header=BB0_7082 Depth=1
	s_and_not1_saveexec_b32 s88, s88
; %bb.11729:                            ;   in Loop: Header=BB0_7082 Depth=1
	s_delay_alu instid0(VALU_DEP_1)
	v_add_nc_u32_e32 v9, 0x2c000000, v9
; %bb.11730:                            ;   in Loop: Header=BB0_7082 Depth=1
	s_or_b32 exec_lo, exec_lo, s88
.LBB0_11731:                            ;   in Loop: Header=BB0_7082 Depth=1
	s_and_not1_saveexec_b32 s87, s87
; %bb.11732:                            ;   in Loop: Header=BB0_7082 Depth=1
	s_delay_alu instid0(VALU_DEP_1)
	v_add_nc_u32_e32 v9, 0x30000000, v9
; %bb.11733:                            ;   in Loop: Header=BB0_7082 Depth=1
	s_or_b32 exec_lo, exec_lo, s87
.LBB0_11734:                            ;   in Loop: Header=BB0_7082 Depth=1
	s_and_not1_saveexec_b32 s86, s86
; %bb.11735:                            ;   in Loop: Header=BB0_7082 Depth=1
	s_delay_alu instid0(VALU_DEP_1)
	v_add_nc_u32_e32 v9, 0x34000000, v9
; %bb.11736:                            ;   in Loop: Header=BB0_7082 Depth=1
	s_or_b32 exec_lo, exec_lo, s86
.LBB0_11737:                            ;   in Loop: Header=BB0_7082 Depth=1
	s_and_not1_saveexec_b32 s85, s85
; %bb.11738:                            ;   in Loop: Header=BB0_7082 Depth=1
	s_delay_alu instid0(VALU_DEP_1)
	v_add_nc_u32_e32 v9, 0x38000000, v9
; %bb.11739:                            ;   in Loop: Header=BB0_7082 Depth=1
	s_or_b32 exec_lo, exec_lo, s85
.LBB0_11740:                            ;   in Loop: Header=BB0_7082 Depth=1
	s_and_not1_saveexec_b32 s84, s84
; %bb.11741:                            ;   in Loop: Header=BB0_7082 Depth=1
	s_delay_alu instid0(VALU_DEP_1)
	v_add_nc_u32_e32 v9, 0x3c000000, v9
; %bb.11742:                            ;   in Loop: Header=BB0_7082 Depth=1
	s_or_b32 exec_lo, exec_lo, s84
.LBB0_11743:                            ;   in Loop: Header=BB0_7082 Depth=1
	s_and_not1_saveexec_b32 s83, s83
; %bb.11744:                            ;   in Loop: Header=BB0_7082 Depth=1
	s_delay_alu instid0(VALU_DEP_1)
	v_add_nc_u32_e32 v9, 2.0, v9
; %bb.11745:                            ;   in Loop: Header=BB0_7082 Depth=1
	s_or_b32 exec_lo, exec_lo, s83
.LBB0_11746:                            ;   in Loop: Header=BB0_7082 Depth=1
	s_and_not1_saveexec_b32 s82, s82
; %bb.11747:                            ;   in Loop: Header=BB0_7082 Depth=1
	s_delay_alu instid0(VALU_DEP_1)
	v_add_nc_u32_e32 v9, 0x44000000, v9
; %bb.11748:                            ;   in Loop: Header=BB0_7082 Depth=1
	s_or_b32 exec_lo, exec_lo, s82
.LBB0_11749:                            ;   in Loop: Header=BB0_7082 Depth=1
	s_and_not1_saveexec_b32 s81, s81
; %bb.11750:                            ;   in Loop: Header=BB0_7082 Depth=1
	s_delay_alu instid0(VALU_DEP_1)
	v_add_nc_u32_e32 v9, 0x48000000, v9
; %bb.11751:                            ;   in Loop: Header=BB0_7082 Depth=1
	s_or_b32 exec_lo, exec_lo, s81
.LBB0_11752:                            ;   in Loop: Header=BB0_7082 Depth=1
	s_and_not1_saveexec_b32 s80, s80
; %bb.11753:                            ;   in Loop: Header=BB0_7082 Depth=1
	s_delay_alu instid0(VALU_DEP_1)
	v_add_nc_u32_e32 v9, 0x4c000000, v9
; %bb.11754:                            ;   in Loop: Header=BB0_7082 Depth=1
	s_or_b32 exec_lo, exec_lo, s80
.LBB0_11755:                            ;   in Loop: Header=BB0_7082 Depth=1
	s_and_not1_saveexec_b32 s79, s79
; %bb.11756:                            ;   in Loop: Header=BB0_7082 Depth=1
	s_delay_alu instid0(VALU_DEP_1)
	v_add_nc_u32_e32 v9, 0x50000000, v9
; %bb.11757:                            ;   in Loop: Header=BB0_7082 Depth=1
	s_or_b32 exec_lo, exec_lo, s79
.LBB0_11758:                            ;   in Loop: Header=BB0_7082 Depth=1
	s_and_not1_saveexec_b32 s78, s78
; %bb.11759:                            ;   in Loop: Header=BB0_7082 Depth=1
	s_delay_alu instid0(VALU_DEP_1)
	v_add_nc_u32_e32 v9, 0x54000000, v9
; %bb.11760:                            ;   in Loop: Header=BB0_7082 Depth=1
	s_or_b32 exec_lo, exec_lo, s78
.LBB0_11761:                            ;   in Loop: Header=BB0_7082 Depth=1
	s_and_not1_saveexec_b32 s77, s77
; %bb.11762:                            ;   in Loop: Header=BB0_7082 Depth=1
	s_delay_alu instid0(VALU_DEP_1)
	v_add_nc_u32_e32 v9, 0x58000000, v9
; %bb.11763:                            ;   in Loop: Header=BB0_7082 Depth=1
	s_or_b32 exec_lo, exec_lo, s77
.LBB0_11764:                            ;   in Loop: Header=BB0_7082 Depth=1
	s_and_not1_saveexec_b32 s76, s76
; %bb.11765:                            ;   in Loop: Header=BB0_7082 Depth=1
	s_delay_alu instid0(VALU_DEP_1)
	v_add_nc_u32_e32 v9, 0x5c000000, v9
; %bb.11766:                            ;   in Loop: Header=BB0_7082 Depth=1
	s_or_b32 exec_lo, exec_lo, s76
.LBB0_11767:                            ;   in Loop: Header=BB0_7082 Depth=1
	s_and_not1_saveexec_b32 s75, s75
; %bb.11768:                            ;   in Loop: Header=BB0_7082 Depth=1
	s_delay_alu instid0(VALU_DEP_1)
	v_add_nc_u32_e32 v9, 0x60000000, v9
; %bb.11769:                            ;   in Loop: Header=BB0_7082 Depth=1
	s_or_b32 exec_lo, exec_lo, s75
.LBB0_11770:                            ;   in Loop: Header=BB0_7082 Depth=1
	s_and_not1_saveexec_b32 s74, s74
; %bb.11771:                            ;   in Loop: Header=BB0_7082 Depth=1
	s_delay_alu instid0(VALU_DEP_1)
	v_add_nc_u32_e32 v9, 0x64000000, v9
; %bb.11772:                            ;   in Loop: Header=BB0_7082 Depth=1
	s_or_b32 exec_lo, exec_lo, s74
.LBB0_11773:                            ;   in Loop: Header=BB0_7082 Depth=1
	s_and_not1_saveexec_b32 s73, s73
; %bb.11774:                            ;   in Loop: Header=BB0_7082 Depth=1
	s_delay_alu instid0(VALU_DEP_1)
	v_add_nc_u32_e32 v9, 0x68000000, v9
; %bb.11775:                            ;   in Loop: Header=BB0_7082 Depth=1
	s_or_b32 exec_lo, exec_lo, s73
.LBB0_11776:                            ;   in Loop: Header=BB0_7082 Depth=1
	s_and_not1_saveexec_b32 s72, s72
; %bb.11777:                            ;   in Loop: Header=BB0_7082 Depth=1
	s_delay_alu instid0(VALU_DEP_1)
	v_add_nc_u32_e32 v9, 0x6c000000, v9
; %bb.11778:                            ;   in Loop: Header=BB0_7082 Depth=1
	s_or_b32 exec_lo, exec_lo, s72
.LBB0_11779:                            ;   in Loop: Header=BB0_7082 Depth=1
	s_and_not1_saveexec_b32 s71, s71
; %bb.11780:                            ;   in Loop: Header=BB0_7082 Depth=1
	s_delay_alu instid0(VALU_DEP_1)
	v_add_nc_u32_e32 v9, 0x70000000, v9
; %bb.11781:                            ;   in Loop: Header=BB0_7082 Depth=1
	s_or_b32 exec_lo, exec_lo, s71
.LBB0_11782:                            ;   in Loop: Header=BB0_7082 Depth=1
	s_and_not1_saveexec_b32 s70, s70
; %bb.11783:                            ;   in Loop: Header=BB0_7082 Depth=1
	s_delay_alu instid0(VALU_DEP_1)
	v_add_nc_u32_e32 v9, 0x74000000, v9
; %bb.11784:                            ;   in Loop: Header=BB0_7082 Depth=1
	s_or_b32 exec_lo, exec_lo, s70
.LBB0_11785:                            ;   in Loop: Header=BB0_7082 Depth=1
	s_and_not1_saveexec_b32 s69, s69
; %bb.11786:                            ;   in Loop: Header=BB0_7082 Depth=1
	s_delay_alu instid0(VALU_DEP_1)
	v_add_nc_u32_e32 v9, 0x78000000, v9
; %bb.11787:                            ;   in Loop: Header=BB0_7082 Depth=1
	s_or_b32 exec_lo, exec_lo, s69
.LBB0_11788:                            ;   in Loop: Header=BB0_7082 Depth=1
	s_and_not1_saveexec_b32 s68, s68
; %bb.11789:                            ;   in Loop: Header=BB0_7082 Depth=1
	s_delay_alu instid0(VALU_DEP_1)
	v_add_nc_u32_e32 v9, 0x7c000000, v9
; %bb.11790:                            ;   in Loop: Header=BB0_7082 Depth=1
	s_or_b32 exec_lo, exec_lo, s68
	v_mov_b32_e32 v0, s62
	v_add3_u32 v11, v10, s63, 0x28000
	v_mov_b32_e32 v8, 0x7c
	s_mov_b32 s68, exec_lo
	ds_load_2addr_b64 v[12:15], v0 offset0:132 offset1:133
	ds_load_b64 v[16:17], v0 offset:1072
	global_store_b32 v11, v9, s[34:35] scale_offset
	s_wait_dscnt 0x1
	v_mul_f64_e32 v[0:1], v[4:5], v[14:15]
	s_delay_alu instid0(VALU_DEP_1) | instskip(SKIP_1) | instid1(VALU_DEP_1)
	v_fmac_f64_e32 v[0:1], v[2:3], v[12:13]
	s_wait_dscnt 0x0
	v_fmac_f64_e32 v[0:1], v[6:7], v[16:17]
	s_wait_xcnt 0x0
	s_delay_alu instid0(VALU_DEP_1)
	v_cmpx_ngt_f64_e32 s[60:61], v[0:1]
	s_cbranch_execz .LBB0_11852
; %bb.11791:                            ;   in Loop: Header=BB0_7082 Depth=1
	v_mov_b32_e32 v8, 0x78
	s_mov_b32 s69, exec_lo
	v_cmpx_ngt_f64_e32 s[66:67], v[0:1]
	s_cbranch_execz .LBB0_11851
; %bb.11792:                            ;   in Loop: Header=BB0_7082 Depth=1
	v_mov_b32_e32 v8, 0x74
	s_mov_b32 s70, exec_lo
	;; [unrolled: 5-line block ×30, first 2 shown]
	v_cmpx_gt_f64_e32 s[36:37], v[0:1]
; %bb.11821:                            ;   in Loop: Header=BB0_7082 Depth=1
	v_mov_b32_e32 v8, 4
; %bb.11822:                            ;   in Loop: Header=BB0_7082 Depth=1
	s_or_b32 exec_lo, exec_lo, s98
.LBB0_11823:                            ;   in Loop: Header=BB0_7082 Depth=1
	s_delay_alu instid0(SALU_CYCLE_1)
	s_or_b32 exec_lo, exec_lo, s97
.LBB0_11824:                            ;   in Loop: Header=BB0_7082 Depth=1
	s_delay_alu instid0(SALU_CYCLE_1)
	s_or_b32 exec_lo, exec_lo, s96
.LBB0_11825:                            ;   in Loop: Header=BB0_7082 Depth=1
	s_delay_alu instid0(SALU_CYCLE_1)
	s_or_b32 exec_lo, exec_lo, s95
.LBB0_11826:                            ;   in Loop: Header=BB0_7082 Depth=1
	s_delay_alu instid0(SALU_CYCLE_1)
	s_or_b32 exec_lo, exec_lo, s94
.LBB0_11827:                            ;   in Loop: Header=BB0_7082 Depth=1
	s_delay_alu instid0(SALU_CYCLE_1)
	s_or_b32 exec_lo, exec_lo, s93
.LBB0_11828:                            ;   in Loop: Header=BB0_7082 Depth=1
	s_delay_alu instid0(SALU_CYCLE_1)
	s_or_b32 exec_lo, exec_lo, s92
.LBB0_11829:                            ;   in Loop: Header=BB0_7082 Depth=1
	s_delay_alu instid0(SALU_CYCLE_1)
	s_or_b32 exec_lo, exec_lo, s91
.LBB0_11830:                            ;   in Loop: Header=BB0_7082 Depth=1
	s_delay_alu instid0(SALU_CYCLE_1)
	s_or_b32 exec_lo, exec_lo, s90
.LBB0_11831:                            ;   in Loop: Header=BB0_7082 Depth=1
	s_delay_alu instid0(SALU_CYCLE_1)
	s_or_b32 exec_lo, exec_lo, s89
.LBB0_11832:                            ;   in Loop: Header=BB0_7082 Depth=1
	s_delay_alu instid0(SALU_CYCLE_1)
	s_or_b32 exec_lo, exec_lo, s88
.LBB0_11833:                            ;   in Loop: Header=BB0_7082 Depth=1
	s_delay_alu instid0(SALU_CYCLE_1)
	s_or_b32 exec_lo, exec_lo, s87
.LBB0_11834:                            ;   in Loop: Header=BB0_7082 Depth=1
	s_delay_alu instid0(SALU_CYCLE_1)
	s_or_b32 exec_lo, exec_lo, s86
.LBB0_11835:                            ;   in Loop: Header=BB0_7082 Depth=1
	s_delay_alu instid0(SALU_CYCLE_1)
	s_or_b32 exec_lo, exec_lo, s85
.LBB0_11836:                            ;   in Loop: Header=BB0_7082 Depth=1
	s_delay_alu instid0(SALU_CYCLE_1)
	s_or_b32 exec_lo, exec_lo, s84
.LBB0_11837:                            ;   in Loop: Header=BB0_7082 Depth=1
	s_delay_alu instid0(SALU_CYCLE_1)
	s_or_b32 exec_lo, exec_lo, s83
.LBB0_11838:                            ;   in Loop: Header=BB0_7082 Depth=1
	s_delay_alu instid0(SALU_CYCLE_1)
	s_or_b32 exec_lo, exec_lo, s82
.LBB0_11839:                            ;   in Loop: Header=BB0_7082 Depth=1
	s_delay_alu instid0(SALU_CYCLE_1)
	s_or_b32 exec_lo, exec_lo, s81
.LBB0_11840:                            ;   in Loop: Header=BB0_7082 Depth=1
	s_delay_alu instid0(SALU_CYCLE_1)
	s_or_b32 exec_lo, exec_lo, s80
.LBB0_11841:                            ;   in Loop: Header=BB0_7082 Depth=1
	s_delay_alu instid0(SALU_CYCLE_1)
	s_or_b32 exec_lo, exec_lo, s79
.LBB0_11842:                            ;   in Loop: Header=BB0_7082 Depth=1
	s_delay_alu instid0(SALU_CYCLE_1)
	s_or_b32 exec_lo, exec_lo, s78
.LBB0_11843:                            ;   in Loop: Header=BB0_7082 Depth=1
	s_delay_alu instid0(SALU_CYCLE_1)
	s_or_b32 exec_lo, exec_lo, s77
.LBB0_11844:                            ;   in Loop: Header=BB0_7082 Depth=1
	s_delay_alu instid0(SALU_CYCLE_1)
	s_or_b32 exec_lo, exec_lo, s76
.LBB0_11845:                            ;   in Loop: Header=BB0_7082 Depth=1
	s_delay_alu instid0(SALU_CYCLE_1)
	s_or_b32 exec_lo, exec_lo, s75
.LBB0_11846:                            ;   in Loop: Header=BB0_7082 Depth=1
	s_delay_alu instid0(SALU_CYCLE_1)
	s_or_b32 exec_lo, exec_lo, s74
.LBB0_11847:                            ;   in Loop: Header=BB0_7082 Depth=1
	s_delay_alu instid0(SALU_CYCLE_1)
	s_or_b32 exec_lo, exec_lo, s73
.LBB0_11848:                            ;   in Loop: Header=BB0_7082 Depth=1
	s_delay_alu instid0(SALU_CYCLE_1)
	s_or_b32 exec_lo, exec_lo, s72
.LBB0_11849:                            ;   in Loop: Header=BB0_7082 Depth=1
	s_delay_alu instid0(SALU_CYCLE_1)
	s_or_b32 exec_lo, exec_lo, s71
.LBB0_11850:                            ;   in Loop: Header=BB0_7082 Depth=1
	s_delay_alu instid0(SALU_CYCLE_1)
	s_or_b32 exec_lo, exec_lo, s70
.LBB0_11851:                            ;   in Loop: Header=BB0_7082 Depth=1
	s_delay_alu instid0(SALU_CYCLE_1)
	s_or_b32 exec_lo, exec_lo, s69
.LBB0_11852:                            ;   in Loop: Header=BB0_7082 Depth=1
	s_delay_alu instid0(SALU_CYCLE_1)
	s_or_b32 exec_lo, exec_lo, s68
	v_mov_b32_e32 v0, s62
	s_mov_b32 s68, exec_lo
	ds_load_2addr_b64 v[12:15], v0 offset0:135 offset1:136
	ds_load_b64 v[16:17], v0 offset:1096
	s_wait_dscnt 0x1
	v_mul_f64_e32 v[0:1], v[4:5], v[14:15]
	s_delay_alu instid0(VALU_DEP_1) | instskip(SKIP_1) | instid1(VALU_DEP_1)
	v_fmac_f64_e32 v[0:1], v[2:3], v[12:13]
	s_wait_dscnt 0x0
	v_fmac_f64_e32 v[0:1], v[6:7], v[16:17]
	s_delay_alu instid0(VALU_DEP_1)
	v_cmpx_ngt_f64_e32 s[60:61], v[0:1]
	s_xor_b32 s68, exec_lo, s68
	s_cbranch_execz .LBB0_11972
; %bb.11853:                            ;   in Loop: Header=BB0_7082 Depth=1
	s_mov_b32 s69, exec_lo
	v_cmpx_ngt_f64_e32 s[66:67], v[0:1]
	s_xor_b32 s69, exec_lo, s69
	s_cbranch_execz .LBB0_11969
; %bb.11854:                            ;   in Loop: Header=BB0_7082 Depth=1
	s_mov_b32 s70, exec_lo
	;; [unrolled: 5-line block ×30, first 2 shown]
	v_cmpx_gt_f64_e32 s[36:37], v[0:1]
; %bb.11883:                            ;   in Loop: Header=BB0_7082 Depth=1
	v_or_b32_e32 v8, 0x400, v8
; %bb.11884:                            ;   in Loop: Header=BB0_7082 Depth=1
	s_or_b32 exec_lo, exec_lo, s98
.LBB0_11885:                            ;   in Loop: Header=BB0_7082 Depth=1
	s_and_not1_saveexec_b32 s97, s97
; %bb.11886:                            ;   in Loop: Header=BB0_7082 Depth=1
	s_delay_alu instid0(VALU_DEP_1)
	v_or_b32_e32 v8, 0x800, v8
; %bb.11887:                            ;   in Loop: Header=BB0_7082 Depth=1
	s_or_b32 exec_lo, exec_lo, s97
.LBB0_11888:                            ;   in Loop: Header=BB0_7082 Depth=1
	s_and_not1_saveexec_b32 s96, s96
; %bb.11889:                            ;   in Loop: Header=BB0_7082 Depth=1
	s_delay_alu instid0(VALU_DEP_1)
	v_or_b32_e32 v8, 0xc00, v8
; %bb.11890:                            ;   in Loop: Header=BB0_7082 Depth=1
	s_or_b32 exec_lo, exec_lo, s96
.LBB0_11891:                            ;   in Loop: Header=BB0_7082 Depth=1
	s_and_not1_saveexec_b32 s95, s95
; %bb.11892:                            ;   in Loop: Header=BB0_7082 Depth=1
	s_delay_alu instid0(VALU_DEP_1)
	v_or_b32_e32 v8, 0x1000, v8
; %bb.11893:                            ;   in Loop: Header=BB0_7082 Depth=1
	s_or_b32 exec_lo, exec_lo, s95
.LBB0_11894:                            ;   in Loop: Header=BB0_7082 Depth=1
	s_and_not1_saveexec_b32 s94, s94
; %bb.11895:                            ;   in Loop: Header=BB0_7082 Depth=1
	s_delay_alu instid0(VALU_DEP_1)
	v_or_b32_e32 v8, 0x1400, v8
; %bb.11896:                            ;   in Loop: Header=BB0_7082 Depth=1
	s_or_b32 exec_lo, exec_lo, s94
.LBB0_11897:                            ;   in Loop: Header=BB0_7082 Depth=1
	s_and_not1_saveexec_b32 s93, s93
; %bb.11898:                            ;   in Loop: Header=BB0_7082 Depth=1
	s_delay_alu instid0(VALU_DEP_1)
	v_or_b32_e32 v8, 0x1800, v8
; %bb.11899:                            ;   in Loop: Header=BB0_7082 Depth=1
	s_or_b32 exec_lo, exec_lo, s93
.LBB0_11900:                            ;   in Loop: Header=BB0_7082 Depth=1
	s_and_not1_saveexec_b32 s92, s92
; %bb.11901:                            ;   in Loop: Header=BB0_7082 Depth=1
	s_delay_alu instid0(VALU_DEP_1)
	v_or_b32_e32 v8, 0x1c00, v8
; %bb.11902:                            ;   in Loop: Header=BB0_7082 Depth=1
	s_or_b32 exec_lo, exec_lo, s92
.LBB0_11903:                            ;   in Loop: Header=BB0_7082 Depth=1
	s_and_not1_saveexec_b32 s91, s91
; %bb.11904:                            ;   in Loop: Header=BB0_7082 Depth=1
	s_delay_alu instid0(VALU_DEP_1)
	v_or_b32_e32 v8, 0x2000, v8
; %bb.11905:                            ;   in Loop: Header=BB0_7082 Depth=1
	s_or_b32 exec_lo, exec_lo, s91
.LBB0_11906:                            ;   in Loop: Header=BB0_7082 Depth=1
	s_and_not1_saveexec_b32 s90, s90
; %bb.11907:                            ;   in Loop: Header=BB0_7082 Depth=1
	s_delay_alu instid0(VALU_DEP_1)
	v_or_b32_e32 v8, 0x2400, v8
; %bb.11908:                            ;   in Loop: Header=BB0_7082 Depth=1
	s_or_b32 exec_lo, exec_lo, s90
.LBB0_11909:                            ;   in Loop: Header=BB0_7082 Depth=1
	s_and_not1_saveexec_b32 s89, s89
; %bb.11910:                            ;   in Loop: Header=BB0_7082 Depth=1
	s_delay_alu instid0(VALU_DEP_1)
	v_or_b32_e32 v8, 0x2800, v8
; %bb.11911:                            ;   in Loop: Header=BB0_7082 Depth=1
	s_or_b32 exec_lo, exec_lo, s89
.LBB0_11912:                            ;   in Loop: Header=BB0_7082 Depth=1
	s_and_not1_saveexec_b32 s88, s88
; %bb.11913:                            ;   in Loop: Header=BB0_7082 Depth=1
	s_delay_alu instid0(VALU_DEP_1)
	v_or_b32_e32 v8, 0x2c00, v8
; %bb.11914:                            ;   in Loop: Header=BB0_7082 Depth=1
	s_or_b32 exec_lo, exec_lo, s88
.LBB0_11915:                            ;   in Loop: Header=BB0_7082 Depth=1
	s_and_not1_saveexec_b32 s87, s87
; %bb.11916:                            ;   in Loop: Header=BB0_7082 Depth=1
	s_delay_alu instid0(VALU_DEP_1)
	v_or_b32_e32 v8, 0x3000, v8
; %bb.11917:                            ;   in Loop: Header=BB0_7082 Depth=1
	s_or_b32 exec_lo, exec_lo, s87
.LBB0_11918:                            ;   in Loop: Header=BB0_7082 Depth=1
	s_and_not1_saveexec_b32 s86, s86
; %bb.11919:                            ;   in Loop: Header=BB0_7082 Depth=1
	s_delay_alu instid0(VALU_DEP_1)
	v_or_b32_e32 v8, 0x3400, v8
; %bb.11920:                            ;   in Loop: Header=BB0_7082 Depth=1
	s_or_b32 exec_lo, exec_lo, s86
.LBB0_11921:                            ;   in Loop: Header=BB0_7082 Depth=1
	s_and_not1_saveexec_b32 s85, s85
; %bb.11922:                            ;   in Loop: Header=BB0_7082 Depth=1
	s_delay_alu instid0(VALU_DEP_1)
	v_or_b32_e32 v8, 0x3800, v8
; %bb.11923:                            ;   in Loop: Header=BB0_7082 Depth=1
	s_or_b32 exec_lo, exec_lo, s85
.LBB0_11924:                            ;   in Loop: Header=BB0_7082 Depth=1
	s_and_not1_saveexec_b32 s84, s84
; %bb.11925:                            ;   in Loop: Header=BB0_7082 Depth=1
	s_delay_alu instid0(VALU_DEP_1)
	v_or_b32_e32 v8, 0x3c00, v8
; %bb.11926:                            ;   in Loop: Header=BB0_7082 Depth=1
	s_or_b32 exec_lo, exec_lo, s84
.LBB0_11927:                            ;   in Loop: Header=BB0_7082 Depth=1
	s_and_not1_saveexec_b32 s83, s83
; %bb.11928:                            ;   in Loop: Header=BB0_7082 Depth=1
	s_delay_alu instid0(VALU_DEP_1)
	v_or_b32_e32 v8, 0x4000, v8
; %bb.11929:                            ;   in Loop: Header=BB0_7082 Depth=1
	s_or_b32 exec_lo, exec_lo, s83
.LBB0_11930:                            ;   in Loop: Header=BB0_7082 Depth=1
	s_and_not1_saveexec_b32 s82, s82
; %bb.11931:                            ;   in Loop: Header=BB0_7082 Depth=1
	s_delay_alu instid0(VALU_DEP_1)
	v_or_b32_e32 v8, 0x4400, v8
; %bb.11932:                            ;   in Loop: Header=BB0_7082 Depth=1
	s_or_b32 exec_lo, exec_lo, s82
.LBB0_11933:                            ;   in Loop: Header=BB0_7082 Depth=1
	s_and_not1_saveexec_b32 s81, s81
; %bb.11934:                            ;   in Loop: Header=BB0_7082 Depth=1
	s_delay_alu instid0(VALU_DEP_1)
	v_or_b32_e32 v8, 0x4800, v8
; %bb.11935:                            ;   in Loop: Header=BB0_7082 Depth=1
	s_or_b32 exec_lo, exec_lo, s81
.LBB0_11936:                            ;   in Loop: Header=BB0_7082 Depth=1
	s_and_not1_saveexec_b32 s80, s80
; %bb.11937:                            ;   in Loop: Header=BB0_7082 Depth=1
	s_delay_alu instid0(VALU_DEP_1)
	v_or_b32_e32 v8, 0x4c00, v8
; %bb.11938:                            ;   in Loop: Header=BB0_7082 Depth=1
	s_or_b32 exec_lo, exec_lo, s80
.LBB0_11939:                            ;   in Loop: Header=BB0_7082 Depth=1
	s_and_not1_saveexec_b32 s79, s79
; %bb.11940:                            ;   in Loop: Header=BB0_7082 Depth=1
	s_delay_alu instid0(VALU_DEP_1)
	v_or_b32_e32 v8, 0x5000, v8
; %bb.11941:                            ;   in Loop: Header=BB0_7082 Depth=1
	s_or_b32 exec_lo, exec_lo, s79
.LBB0_11942:                            ;   in Loop: Header=BB0_7082 Depth=1
	s_and_not1_saveexec_b32 s78, s78
; %bb.11943:                            ;   in Loop: Header=BB0_7082 Depth=1
	s_delay_alu instid0(VALU_DEP_1)
	v_or_b32_e32 v8, 0x5400, v8
; %bb.11944:                            ;   in Loop: Header=BB0_7082 Depth=1
	s_or_b32 exec_lo, exec_lo, s78
.LBB0_11945:                            ;   in Loop: Header=BB0_7082 Depth=1
	s_and_not1_saveexec_b32 s77, s77
; %bb.11946:                            ;   in Loop: Header=BB0_7082 Depth=1
	s_delay_alu instid0(VALU_DEP_1)
	v_or_b32_e32 v8, 0x5800, v8
; %bb.11947:                            ;   in Loop: Header=BB0_7082 Depth=1
	s_or_b32 exec_lo, exec_lo, s77
.LBB0_11948:                            ;   in Loop: Header=BB0_7082 Depth=1
	s_and_not1_saveexec_b32 s76, s76
; %bb.11949:                            ;   in Loop: Header=BB0_7082 Depth=1
	s_delay_alu instid0(VALU_DEP_1)
	v_or_b32_e32 v8, 0x5c00, v8
; %bb.11950:                            ;   in Loop: Header=BB0_7082 Depth=1
	s_or_b32 exec_lo, exec_lo, s76
.LBB0_11951:                            ;   in Loop: Header=BB0_7082 Depth=1
	s_and_not1_saveexec_b32 s75, s75
; %bb.11952:                            ;   in Loop: Header=BB0_7082 Depth=1
	s_delay_alu instid0(VALU_DEP_1)
	v_or_b32_e32 v8, 0x6000, v8
; %bb.11953:                            ;   in Loop: Header=BB0_7082 Depth=1
	s_or_b32 exec_lo, exec_lo, s75
.LBB0_11954:                            ;   in Loop: Header=BB0_7082 Depth=1
	s_and_not1_saveexec_b32 s74, s74
; %bb.11955:                            ;   in Loop: Header=BB0_7082 Depth=1
	s_delay_alu instid0(VALU_DEP_1)
	v_or_b32_e32 v8, 0x6400, v8
; %bb.11956:                            ;   in Loop: Header=BB0_7082 Depth=1
	s_or_b32 exec_lo, exec_lo, s74
.LBB0_11957:                            ;   in Loop: Header=BB0_7082 Depth=1
	s_and_not1_saveexec_b32 s73, s73
; %bb.11958:                            ;   in Loop: Header=BB0_7082 Depth=1
	s_delay_alu instid0(VALU_DEP_1)
	v_or_b32_e32 v8, 0x6800, v8
; %bb.11959:                            ;   in Loop: Header=BB0_7082 Depth=1
	s_or_b32 exec_lo, exec_lo, s73
.LBB0_11960:                            ;   in Loop: Header=BB0_7082 Depth=1
	s_and_not1_saveexec_b32 s72, s72
; %bb.11961:                            ;   in Loop: Header=BB0_7082 Depth=1
	s_delay_alu instid0(VALU_DEP_1)
	v_or_b32_e32 v8, 0x6c00, v8
; %bb.11962:                            ;   in Loop: Header=BB0_7082 Depth=1
	s_or_b32 exec_lo, exec_lo, s72
.LBB0_11963:                            ;   in Loop: Header=BB0_7082 Depth=1
	s_and_not1_saveexec_b32 s71, s71
; %bb.11964:                            ;   in Loop: Header=BB0_7082 Depth=1
	s_delay_alu instid0(VALU_DEP_1)
	v_or_b32_e32 v8, 0x7000, v8
; %bb.11965:                            ;   in Loop: Header=BB0_7082 Depth=1
	s_or_b32 exec_lo, exec_lo, s71
.LBB0_11966:                            ;   in Loop: Header=BB0_7082 Depth=1
	s_and_not1_saveexec_b32 s70, s70
; %bb.11967:                            ;   in Loop: Header=BB0_7082 Depth=1
	s_delay_alu instid0(VALU_DEP_1)
	v_or_b32_e32 v8, 0x7400, v8
; %bb.11968:                            ;   in Loop: Header=BB0_7082 Depth=1
	s_or_b32 exec_lo, exec_lo, s70
.LBB0_11969:                            ;   in Loop: Header=BB0_7082 Depth=1
	s_and_not1_saveexec_b32 s69, s69
; %bb.11970:                            ;   in Loop: Header=BB0_7082 Depth=1
	s_delay_alu instid0(VALU_DEP_1)
	v_or_b32_e32 v8, 0x7800, v8
; %bb.11971:                            ;   in Loop: Header=BB0_7082 Depth=1
	s_or_b32 exec_lo, exec_lo, s69
.LBB0_11972:                            ;   in Loop: Header=BB0_7082 Depth=1
	s_and_not1_saveexec_b32 s68, s68
; %bb.11973:                            ;   in Loop: Header=BB0_7082 Depth=1
	s_delay_alu instid0(VALU_DEP_1)
	v_or_b32_e32 v8, 0x7c00, v8
; %bb.11974:                            ;   in Loop: Header=BB0_7082 Depth=1
	s_or_b32 exec_lo, exec_lo, s68
	v_mov_b32_e32 v0, s62
	s_mov_b32 s68, exec_lo
	ds_load_2addr_b64 v[12:15], v0 offset0:138 offset1:139
	ds_load_b64 v[16:17], v0 offset:1120
	s_wait_dscnt 0x1
	v_mul_f64_e32 v[0:1], v[4:5], v[14:15]
	s_delay_alu instid0(VALU_DEP_1) | instskip(SKIP_1) | instid1(VALU_DEP_1)
	v_fmac_f64_e32 v[0:1], v[2:3], v[12:13]
	s_wait_dscnt 0x0
	v_fmac_f64_e32 v[0:1], v[6:7], v[16:17]
	s_delay_alu instid0(VALU_DEP_1)
	v_cmpx_ngt_f64_e32 s[60:61], v[0:1]
	s_xor_b32 s68, exec_lo, s68
	s_cbranch_execz .LBB0_12094
; %bb.11975:                            ;   in Loop: Header=BB0_7082 Depth=1
	s_mov_b32 s69, exec_lo
	v_cmpx_ngt_f64_e32 s[66:67], v[0:1]
	s_xor_b32 s69, exec_lo, s69
	s_cbranch_execz .LBB0_12091
; %bb.11976:                            ;   in Loop: Header=BB0_7082 Depth=1
	s_mov_b32 s70, exec_lo
	;; [unrolled: 5-line block ×30, first 2 shown]
	v_cmpx_gt_f64_e32 s[36:37], v[0:1]
; %bb.12005:                            ;   in Loop: Header=BB0_7082 Depth=1
	v_add_nc_u32_e32 v8, 0x40000, v8
; %bb.12006:                            ;   in Loop: Header=BB0_7082 Depth=1
	s_or_b32 exec_lo, exec_lo, s98
.LBB0_12007:                            ;   in Loop: Header=BB0_7082 Depth=1
	s_and_not1_saveexec_b32 s97, s97
; %bb.12008:                            ;   in Loop: Header=BB0_7082 Depth=1
	s_delay_alu instid0(VALU_DEP_1)
	v_add_nc_u32_e32 v8, 0x80000, v8
; %bb.12009:                            ;   in Loop: Header=BB0_7082 Depth=1
	s_or_b32 exec_lo, exec_lo, s97
.LBB0_12010:                            ;   in Loop: Header=BB0_7082 Depth=1
	s_and_not1_saveexec_b32 s96, s96
; %bb.12011:                            ;   in Loop: Header=BB0_7082 Depth=1
	s_delay_alu instid0(VALU_DEP_1)
	v_add_nc_u32_e32 v8, 0xc0000, v8
; %bb.12012:                            ;   in Loop: Header=BB0_7082 Depth=1
	s_or_b32 exec_lo, exec_lo, s96
.LBB0_12013:                            ;   in Loop: Header=BB0_7082 Depth=1
	s_and_not1_saveexec_b32 s95, s95
; %bb.12014:                            ;   in Loop: Header=BB0_7082 Depth=1
	s_delay_alu instid0(VALU_DEP_1)
	v_add_nc_u32_e32 v8, 0x100000, v8
; %bb.12015:                            ;   in Loop: Header=BB0_7082 Depth=1
	s_or_b32 exec_lo, exec_lo, s95
.LBB0_12016:                            ;   in Loop: Header=BB0_7082 Depth=1
	s_and_not1_saveexec_b32 s94, s94
; %bb.12017:                            ;   in Loop: Header=BB0_7082 Depth=1
	s_delay_alu instid0(VALU_DEP_1)
	v_add_nc_u32_e32 v8, 0x140000, v8
; %bb.12018:                            ;   in Loop: Header=BB0_7082 Depth=1
	s_or_b32 exec_lo, exec_lo, s94
.LBB0_12019:                            ;   in Loop: Header=BB0_7082 Depth=1
	s_and_not1_saveexec_b32 s93, s93
; %bb.12020:                            ;   in Loop: Header=BB0_7082 Depth=1
	s_delay_alu instid0(VALU_DEP_1)
	v_add_nc_u32_e32 v8, 0x180000, v8
; %bb.12021:                            ;   in Loop: Header=BB0_7082 Depth=1
	s_or_b32 exec_lo, exec_lo, s93
.LBB0_12022:                            ;   in Loop: Header=BB0_7082 Depth=1
	s_and_not1_saveexec_b32 s92, s92
; %bb.12023:                            ;   in Loop: Header=BB0_7082 Depth=1
	s_delay_alu instid0(VALU_DEP_1)
	v_add_nc_u32_e32 v8, 0x1c0000, v8
; %bb.12024:                            ;   in Loop: Header=BB0_7082 Depth=1
	s_or_b32 exec_lo, exec_lo, s92
.LBB0_12025:                            ;   in Loop: Header=BB0_7082 Depth=1
	s_and_not1_saveexec_b32 s91, s91
; %bb.12026:                            ;   in Loop: Header=BB0_7082 Depth=1
	s_delay_alu instid0(VALU_DEP_1)
	v_add_nc_u32_e32 v8, 0x200000, v8
; %bb.12027:                            ;   in Loop: Header=BB0_7082 Depth=1
	s_or_b32 exec_lo, exec_lo, s91
.LBB0_12028:                            ;   in Loop: Header=BB0_7082 Depth=1
	s_and_not1_saveexec_b32 s90, s90
; %bb.12029:                            ;   in Loop: Header=BB0_7082 Depth=1
	s_delay_alu instid0(VALU_DEP_1)
	v_add_nc_u32_e32 v8, 0x240000, v8
; %bb.12030:                            ;   in Loop: Header=BB0_7082 Depth=1
	s_or_b32 exec_lo, exec_lo, s90
.LBB0_12031:                            ;   in Loop: Header=BB0_7082 Depth=1
	s_and_not1_saveexec_b32 s89, s89
; %bb.12032:                            ;   in Loop: Header=BB0_7082 Depth=1
	s_delay_alu instid0(VALU_DEP_1)
	v_add_nc_u32_e32 v8, 0x280000, v8
; %bb.12033:                            ;   in Loop: Header=BB0_7082 Depth=1
	s_or_b32 exec_lo, exec_lo, s89
.LBB0_12034:                            ;   in Loop: Header=BB0_7082 Depth=1
	s_and_not1_saveexec_b32 s88, s88
; %bb.12035:                            ;   in Loop: Header=BB0_7082 Depth=1
	s_delay_alu instid0(VALU_DEP_1)
	v_add_nc_u32_e32 v8, 0x2c0000, v8
; %bb.12036:                            ;   in Loop: Header=BB0_7082 Depth=1
	s_or_b32 exec_lo, exec_lo, s88
.LBB0_12037:                            ;   in Loop: Header=BB0_7082 Depth=1
	s_and_not1_saveexec_b32 s87, s87
; %bb.12038:                            ;   in Loop: Header=BB0_7082 Depth=1
	s_delay_alu instid0(VALU_DEP_1)
	v_add_nc_u32_e32 v8, 0x300000, v8
; %bb.12039:                            ;   in Loop: Header=BB0_7082 Depth=1
	s_or_b32 exec_lo, exec_lo, s87
.LBB0_12040:                            ;   in Loop: Header=BB0_7082 Depth=1
	s_and_not1_saveexec_b32 s86, s86
; %bb.12041:                            ;   in Loop: Header=BB0_7082 Depth=1
	s_delay_alu instid0(VALU_DEP_1)
	v_add_nc_u32_e32 v8, 0x340000, v8
; %bb.12042:                            ;   in Loop: Header=BB0_7082 Depth=1
	s_or_b32 exec_lo, exec_lo, s86
.LBB0_12043:                            ;   in Loop: Header=BB0_7082 Depth=1
	s_and_not1_saveexec_b32 s85, s85
; %bb.12044:                            ;   in Loop: Header=BB0_7082 Depth=1
	s_delay_alu instid0(VALU_DEP_1)
	v_add_nc_u32_e32 v8, 0x380000, v8
; %bb.12045:                            ;   in Loop: Header=BB0_7082 Depth=1
	s_or_b32 exec_lo, exec_lo, s85
.LBB0_12046:                            ;   in Loop: Header=BB0_7082 Depth=1
	s_and_not1_saveexec_b32 s84, s84
; %bb.12047:                            ;   in Loop: Header=BB0_7082 Depth=1
	s_delay_alu instid0(VALU_DEP_1)
	v_add_nc_u32_e32 v8, 0x3c0000, v8
; %bb.12048:                            ;   in Loop: Header=BB0_7082 Depth=1
	s_or_b32 exec_lo, exec_lo, s84
.LBB0_12049:                            ;   in Loop: Header=BB0_7082 Depth=1
	s_and_not1_saveexec_b32 s83, s83
; %bb.12050:                            ;   in Loop: Header=BB0_7082 Depth=1
	s_delay_alu instid0(VALU_DEP_1)
	v_add_nc_u32_e32 v8, 0x400000, v8
; %bb.12051:                            ;   in Loop: Header=BB0_7082 Depth=1
	s_or_b32 exec_lo, exec_lo, s83
.LBB0_12052:                            ;   in Loop: Header=BB0_7082 Depth=1
	s_and_not1_saveexec_b32 s82, s82
; %bb.12053:                            ;   in Loop: Header=BB0_7082 Depth=1
	s_delay_alu instid0(VALU_DEP_1)
	v_add_nc_u32_e32 v8, 0x440000, v8
; %bb.12054:                            ;   in Loop: Header=BB0_7082 Depth=1
	s_or_b32 exec_lo, exec_lo, s82
.LBB0_12055:                            ;   in Loop: Header=BB0_7082 Depth=1
	s_and_not1_saveexec_b32 s81, s81
; %bb.12056:                            ;   in Loop: Header=BB0_7082 Depth=1
	s_delay_alu instid0(VALU_DEP_1)
	v_add_nc_u32_e32 v8, 0x480000, v8
; %bb.12057:                            ;   in Loop: Header=BB0_7082 Depth=1
	s_or_b32 exec_lo, exec_lo, s81
.LBB0_12058:                            ;   in Loop: Header=BB0_7082 Depth=1
	s_and_not1_saveexec_b32 s80, s80
; %bb.12059:                            ;   in Loop: Header=BB0_7082 Depth=1
	s_delay_alu instid0(VALU_DEP_1)
	v_add_nc_u32_e32 v8, 0x4c0000, v8
; %bb.12060:                            ;   in Loop: Header=BB0_7082 Depth=1
	s_or_b32 exec_lo, exec_lo, s80
.LBB0_12061:                            ;   in Loop: Header=BB0_7082 Depth=1
	s_and_not1_saveexec_b32 s79, s79
; %bb.12062:                            ;   in Loop: Header=BB0_7082 Depth=1
	s_delay_alu instid0(VALU_DEP_1)
	v_add_nc_u32_e32 v8, 0x500000, v8
; %bb.12063:                            ;   in Loop: Header=BB0_7082 Depth=1
	s_or_b32 exec_lo, exec_lo, s79
.LBB0_12064:                            ;   in Loop: Header=BB0_7082 Depth=1
	s_and_not1_saveexec_b32 s78, s78
; %bb.12065:                            ;   in Loop: Header=BB0_7082 Depth=1
	s_delay_alu instid0(VALU_DEP_1)
	v_add_nc_u32_e32 v8, 0x540000, v8
; %bb.12066:                            ;   in Loop: Header=BB0_7082 Depth=1
	s_or_b32 exec_lo, exec_lo, s78
.LBB0_12067:                            ;   in Loop: Header=BB0_7082 Depth=1
	s_and_not1_saveexec_b32 s77, s77
; %bb.12068:                            ;   in Loop: Header=BB0_7082 Depth=1
	s_delay_alu instid0(VALU_DEP_1)
	v_add_nc_u32_e32 v8, 0x580000, v8
; %bb.12069:                            ;   in Loop: Header=BB0_7082 Depth=1
	s_or_b32 exec_lo, exec_lo, s77
.LBB0_12070:                            ;   in Loop: Header=BB0_7082 Depth=1
	s_and_not1_saveexec_b32 s76, s76
; %bb.12071:                            ;   in Loop: Header=BB0_7082 Depth=1
	s_delay_alu instid0(VALU_DEP_1)
	v_add_nc_u32_e32 v8, 0x5c0000, v8
; %bb.12072:                            ;   in Loop: Header=BB0_7082 Depth=1
	s_or_b32 exec_lo, exec_lo, s76
.LBB0_12073:                            ;   in Loop: Header=BB0_7082 Depth=1
	s_and_not1_saveexec_b32 s75, s75
; %bb.12074:                            ;   in Loop: Header=BB0_7082 Depth=1
	s_delay_alu instid0(VALU_DEP_1)
	v_add_nc_u32_e32 v8, 0x600000, v8
; %bb.12075:                            ;   in Loop: Header=BB0_7082 Depth=1
	s_or_b32 exec_lo, exec_lo, s75
.LBB0_12076:                            ;   in Loop: Header=BB0_7082 Depth=1
	s_and_not1_saveexec_b32 s74, s74
; %bb.12077:                            ;   in Loop: Header=BB0_7082 Depth=1
	s_delay_alu instid0(VALU_DEP_1)
	v_add_nc_u32_e32 v8, 0x640000, v8
; %bb.12078:                            ;   in Loop: Header=BB0_7082 Depth=1
	s_or_b32 exec_lo, exec_lo, s74
.LBB0_12079:                            ;   in Loop: Header=BB0_7082 Depth=1
	s_and_not1_saveexec_b32 s73, s73
; %bb.12080:                            ;   in Loop: Header=BB0_7082 Depth=1
	s_delay_alu instid0(VALU_DEP_1)
	v_add_nc_u32_e32 v8, 0x680000, v8
; %bb.12081:                            ;   in Loop: Header=BB0_7082 Depth=1
	s_or_b32 exec_lo, exec_lo, s73
.LBB0_12082:                            ;   in Loop: Header=BB0_7082 Depth=1
	s_and_not1_saveexec_b32 s72, s72
; %bb.12083:                            ;   in Loop: Header=BB0_7082 Depth=1
	s_delay_alu instid0(VALU_DEP_1)
	v_add_nc_u32_e32 v8, 0x6c0000, v8
; %bb.12084:                            ;   in Loop: Header=BB0_7082 Depth=1
	s_or_b32 exec_lo, exec_lo, s72
.LBB0_12085:                            ;   in Loop: Header=BB0_7082 Depth=1
	s_and_not1_saveexec_b32 s71, s71
; %bb.12086:                            ;   in Loop: Header=BB0_7082 Depth=1
	s_delay_alu instid0(VALU_DEP_1)
	v_add_nc_u32_e32 v8, 0x700000, v8
; %bb.12087:                            ;   in Loop: Header=BB0_7082 Depth=1
	s_or_b32 exec_lo, exec_lo, s71
.LBB0_12088:                            ;   in Loop: Header=BB0_7082 Depth=1
	s_and_not1_saveexec_b32 s70, s70
; %bb.12089:                            ;   in Loop: Header=BB0_7082 Depth=1
	s_delay_alu instid0(VALU_DEP_1)
	v_add_nc_u32_e32 v8, 0x740000, v8
; %bb.12090:                            ;   in Loop: Header=BB0_7082 Depth=1
	s_or_b32 exec_lo, exec_lo, s70
.LBB0_12091:                            ;   in Loop: Header=BB0_7082 Depth=1
	s_and_not1_saveexec_b32 s69, s69
; %bb.12092:                            ;   in Loop: Header=BB0_7082 Depth=1
	s_delay_alu instid0(VALU_DEP_1)
	v_add_nc_u32_e32 v8, 0x780000, v8
; %bb.12093:                            ;   in Loop: Header=BB0_7082 Depth=1
	s_or_b32 exec_lo, exec_lo, s69
.LBB0_12094:                            ;   in Loop: Header=BB0_7082 Depth=1
	s_and_not1_saveexec_b32 s68, s68
; %bb.12095:                            ;   in Loop: Header=BB0_7082 Depth=1
	s_delay_alu instid0(VALU_DEP_1)
	v_add_nc_u32_e32 v8, 0x7c0000, v8
; %bb.12096:                            ;   in Loop: Header=BB0_7082 Depth=1
	s_or_b32 exec_lo, exec_lo, s68
	v_mov_b32_e32 v0, s62
	s_mov_b32 s68, exec_lo
	ds_load_2addr_b64 v[12:15], v0 offset0:141 offset1:142
	ds_load_b64 v[16:17], v0 offset:1144
	s_wait_dscnt 0x1
	v_mul_f64_e32 v[0:1], v[4:5], v[14:15]
	s_delay_alu instid0(VALU_DEP_1) | instskip(SKIP_1) | instid1(VALU_DEP_1)
	v_fmac_f64_e32 v[0:1], v[2:3], v[12:13]
	s_wait_dscnt 0x0
	v_fmac_f64_e32 v[0:1], v[6:7], v[16:17]
	s_delay_alu instid0(VALU_DEP_1)
	v_cmpx_ngt_f64_e32 s[60:61], v[0:1]
	s_xor_b32 s68, exec_lo, s68
	s_cbranch_execz .LBB0_12216
; %bb.12097:                            ;   in Loop: Header=BB0_7082 Depth=1
	s_mov_b32 s69, exec_lo
	v_cmpx_ngt_f64_e32 s[66:67], v[0:1]
	s_xor_b32 s69, exec_lo, s69
	s_cbranch_execz .LBB0_12213
; %bb.12098:                            ;   in Loop: Header=BB0_7082 Depth=1
	s_mov_b32 s70, exec_lo
	;; [unrolled: 5-line block ×30, first 2 shown]
	v_cmpx_gt_f64_e32 s[36:37], v[0:1]
; %bb.12127:                            ;   in Loop: Header=BB0_7082 Depth=1
	v_add_nc_u32_e32 v8, 0x4000000, v8
; %bb.12128:                            ;   in Loop: Header=BB0_7082 Depth=1
	s_or_b32 exec_lo, exec_lo, s98
.LBB0_12129:                            ;   in Loop: Header=BB0_7082 Depth=1
	s_and_not1_saveexec_b32 s97, s97
; %bb.12130:                            ;   in Loop: Header=BB0_7082 Depth=1
	s_delay_alu instid0(VALU_DEP_1)
	v_add_nc_u32_e32 v8, 0x8000000, v8
; %bb.12131:                            ;   in Loop: Header=BB0_7082 Depth=1
	s_or_b32 exec_lo, exec_lo, s97
.LBB0_12132:                            ;   in Loop: Header=BB0_7082 Depth=1
	s_and_not1_saveexec_b32 s96, s96
; %bb.12133:                            ;   in Loop: Header=BB0_7082 Depth=1
	s_delay_alu instid0(VALU_DEP_1)
	v_add_nc_u32_e32 v8, 0xc000000, v8
; %bb.12134:                            ;   in Loop: Header=BB0_7082 Depth=1
	s_or_b32 exec_lo, exec_lo, s96
.LBB0_12135:                            ;   in Loop: Header=BB0_7082 Depth=1
	s_and_not1_saveexec_b32 s95, s95
; %bb.12136:                            ;   in Loop: Header=BB0_7082 Depth=1
	s_delay_alu instid0(VALU_DEP_1)
	v_add_nc_u32_e32 v8, 0x10000000, v8
; %bb.12137:                            ;   in Loop: Header=BB0_7082 Depth=1
	s_or_b32 exec_lo, exec_lo, s95
.LBB0_12138:                            ;   in Loop: Header=BB0_7082 Depth=1
	s_and_not1_saveexec_b32 s94, s94
; %bb.12139:                            ;   in Loop: Header=BB0_7082 Depth=1
	s_delay_alu instid0(VALU_DEP_1)
	v_add_nc_u32_e32 v8, 0x14000000, v8
; %bb.12140:                            ;   in Loop: Header=BB0_7082 Depth=1
	s_or_b32 exec_lo, exec_lo, s94
.LBB0_12141:                            ;   in Loop: Header=BB0_7082 Depth=1
	s_and_not1_saveexec_b32 s93, s93
; %bb.12142:                            ;   in Loop: Header=BB0_7082 Depth=1
	s_delay_alu instid0(VALU_DEP_1)
	v_add_nc_u32_e32 v8, 0x18000000, v8
; %bb.12143:                            ;   in Loop: Header=BB0_7082 Depth=1
	s_or_b32 exec_lo, exec_lo, s93
.LBB0_12144:                            ;   in Loop: Header=BB0_7082 Depth=1
	s_and_not1_saveexec_b32 s92, s92
; %bb.12145:                            ;   in Loop: Header=BB0_7082 Depth=1
	s_delay_alu instid0(VALU_DEP_1)
	v_add_nc_u32_e32 v8, 0x1c000000, v8
; %bb.12146:                            ;   in Loop: Header=BB0_7082 Depth=1
	s_or_b32 exec_lo, exec_lo, s92
.LBB0_12147:                            ;   in Loop: Header=BB0_7082 Depth=1
	s_and_not1_saveexec_b32 s91, s91
; %bb.12148:                            ;   in Loop: Header=BB0_7082 Depth=1
	s_delay_alu instid0(VALU_DEP_1)
	v_add_nc_u32_e32 v8, 0x20000000, v8
; %bb.12149:                            ;   in Loop: Header=BB0_7082 Depth=1
	s_or_b32 exec_lo, exec_lo, s91
.LBB0_12150:                            ;   in Loop: Header=BB0_7082 Depth=1
	s_and_not1_saveexec_b32 s90, s90
; %bb.12151:                            ;   in Loop: Header=BB0_7082 Depth=1
	s_delay_alu instid0(VALU_DEP_1)
	v_add_nc_u32_e32 v8, 0x24000000, v8
; %bb.12152:                            ;   in Loop: Header=BB0_7082 Depth=1
	s_or_b32 exec_lo, exec_lo, s90
.LBB0_12153:                            ;   in Loop: Header=BB0_7082 Depth=1
	s_and_not1_saveexec_b32 s89, s89
; %bb.12154:                            ;   in Loop: Header=BB0_7082 Depth=1
	s_delay_alu instid0(VALU_DEP_1)
	v_add_nc_u32_e32 v8, 0x28000000, v8
; %bb.12155:                            ;   in Loop: Header=BB0_7082 Depth=1
	s_or_b32 exec_lo, exec_lo, s89
.LBB0_12156:                            ;   in Loop: Header=BB0_7082 Depth=1
	s_and_not1_saveexec_b32 s88, s88
; %bb.12157:                            ;   in Loop: Header=BB0_7082 Depth=1
	s_delay_alu instid0(VALU_DEP_1)
	v_add_nc_u32_e32 v8, 0x2c000000, v8
; %bb.12158:                            ;   in Loop: Header=BB0_7082 Depth=1
	s_or_b32 exec_lo, exec_lo, s88
.LBB0_12159:                            ;   in Loop: Header=BB0_7082 Depth=1
	s_and_not1_saveexec_b32 s87, s87
; %bb.12160:                            ;   in Loop: Header=BB0_7082 Depth=1
	s_delay_alu instid0(VALU_DEP_1)
	v_add_nc_u32_e32 v8, 0x30000000, v8
; %bb.12161:                            ;   in Loop: Header=BB0_7082 Depth=1
	s_or_b32 exec_lo, exec_lo, s87
.LBB0_12162:                            ;   in Loop: Header=BB0_7082 Depth=1
	s_and_not1_saveexec_b32 s86, s86
; %bb.12163:                            ;   in Loop: Header=BB0_7082 Depth=1
	s_delay_alu instid0(VALU_DEP_1)
	v_add_nc_u32_e32 v8, 0x34000000, v8
; %bb.12164:                            ;   in Loop: Header=BB0_7082 Depth=1
	s_or_b32 exec_lo, exec_lo, s86
.LBB0_12165:                            ;   in Loop: Header=BB0_7082 Depth=1
	s_and_not1_saveexec_b32 s85, s85
; %bb.12166:                            ;   in Loop: Header=BB0_7082 Depth=1
	s_delay_alu instid0(VALU_DEP_1)
	v_add_nc_u32_e32 v8, 0x38000000, v8
; %bb.12167:                            ;   in Loop: Header=BB0_7082 Depth=1
	s_or_b32 exec_lo, exec_lo, s85
.LBB0_12168:                            ;   in Loop: Header=BB0_7082 Depth=1
	s_and_not1_saveexec_b32 s84, s84
; %bb.12169:                            ;   in Loop: Header=BB0_7082 Depth=1
	s_delay_alu instid0(VALU_DEP_1)
	v_add_nc_u32_e32 v8, 0x3c000000, v8
; %bb.12170:                            ;   in Loop: Header=BB0_7082 Depth=1
	s_or_b32 exec_lo, exec_lo, s84
.LBB0_12171:                            ;   in Loop: Header=BB0_7082 Depth=1
	s_and_not1_saveexec_b32 s83, s83
; %bb.12172:                            ;   in Loop: Header=BB0_7082 Depth=1
	s_delay_alu instid0(VALU_DEP_1)
	v_add_nc_u32_e32 v8, 2.0, v8
; %bb.12173:                            ;   in Loop: Header=BB0_7082 Depth=1
	s_or_b32 exec_lo, exec_lo, s83
.LBB0_12174:                            ;   in Loop: Header=BB0_7082 Depth=1
	s_and_not1_saveexec_b32 s82, s82
; %bb.12175:                            ;   in Loop: Header=BB0_7082 Depth=1
	s_delay_alu instid0(VALU_DEP_1)
	v_add_nc_u32_e32 v8, 0x44000000, v8
; %bb.12176:                            ;   in Loop: Header=BB0_7082 Depth=1
	s_or_b32 exec_lo, exec_lo, s82
.LBB0_12177:                            ;   in Loop: Header=BB0_7082 Depth=1
	s_and_not1_saveexec_b32 s81, s81
; %bb.12178:                            ;   in Loop: Header=BB0_7082 Depth=1
	s_delay_alu instid0(VALU_DEP_1)
	v_add_nc_u32_e32 v8, 0x48000000, v8
; %bb.12179:                            ;   in Loop: Header=BB0_7082 Depth=1
	s_or_b32 exec_lo, exec_lo, s81
.LBB0_12180:                            ;   in Loop: Header=BB0_7082 Depth=1
	s_and_not1_saveexec_b32 s80, s80
; %bb.12181:                            ;   in Loop: Header=BB0_7082 Depth=1
	s_delay_alu instid0(VALU_DEP_1)
	v_add_nc_u32_e32 v8, 0x4c000000, v8
; %bb.12182:                            ;   in Loop: Header=BB0_7082 Depth=1
	s_or_b32 exec_lo, exec_lo, s80
.LBB0_12183:                            ;   in Loop: Header=BB0_7082 Depth=1
	s_and_not1_saveexec_b32 s79, s79
; %bb.12184:                            ;   in Loop: Header=BB0_7082 Depth=1
	s_delay_alu instid0(VALU_DEP_1)
	v_add_nc_u32_e32 v8, 0x50000000, v8
; %bb.12185:                            ;   in Loop: Header=BB0_7082 Depth=1
	s_or_b32 exec_lo, exec_lo, s79
.LBB0_12186:                            ;   in Loop: Header=BB0_7082 Depth=1
	s_and_not1_saveexec_b32 s78, s78
; %bb.12187:                            ;   in Loop: Header=BB0_7082 Depth=1
	s_delay_alu instid0(VALU_DEP_1)
	v_add_nc_u32_e32 v8, 0x54000000, v8
; %bb.12188:                            ;   in Loop: Header=BB0_7082 Depth=1
	s_or_b32 exec_lo, exec_lo, s78
.LBB0_12189:                            ;   in Loop: Header=BB0_7082 Depth=1
	s_and_not1_saveexec_b32 s77, s77
; %bb.12190:                            ;   in Loop: Header=BB0_7082 Depth=1
	s_delay_alu instid0(VALU_DEP_1)
	v_add_nc_u32_e32 v8, 0x58000000, v8
; %bb.12191:                            ;   in Loop: Header=BB0_7082 Depth=1
	s_or_b32 exec_lo, exec_lo, s77
.LBB0_12192:                            ;   in Loop: Header=BB0_7082 Depth=1
	s_and_not1_saveexec_b32 s76, s76
; %bb.12193:                            ;   in Loop: Header=BB0_7082 Depth=1
	s_delay_alu instid0(VALU_DEP_1)
	v_add_nc_u32_e32 v8, 0x5c000000, v8
; %bb.12194:                            ;   in Loop: Header=BB0_7082 Depth=1
	s_or_b32 exec_lo, exec_lo, s76
.LBB0_12195:                            ;   in Loop: Header=BB0_7082 Depth=1
	s_and_not1_saveexec_b32 s75, s75
; %bb.12196:                            ;   in Loop: Header=BB0_7082 Depth=1
	s_delay_alu instid0(VALU_DEP_1)
	v_add_nc_u32_e32 v8, 0x60000000, v8
; %bb.12197:                            ;   in Loop: Header=BB0_7082 Depth=1
	s_or_b32 exec_lo, exec_lo, s75
.LBB0_12198:                            ;   in Loop: Header=BB0_7082 Depth=1
	s_and_not1_saveexec_b32 s74, s74
; %bb.12199:                            ;   in Loop: Header=BB0_7082 Depth=1
	s_delay_alu instid0(VALU_DEP_1)
	v_add_nc_u32_e32 v8, 0x64000000, v8
; %bb.12200:                            ;   in Loop: Header=BB0_7082 Depth=1
	s_or_b32 exec_lo, exec_lo, s74
.LBB0_12201:                            ;   in Loop: Header=BB0_7082 Depth=1
	s_and_not1_saveexec_b32 s73, s73
; %bb.12202:                            ;   in Loop: Header=BB0_7082 Depth=1
	s_delay_alu instid0(VALU_DEP_1)
	v_add_nc_u32_e32 v8, 0x68000000, v8
; %bb.12203:                            ;   in Loop: Header=BB0_7082 Depth=1
	s_or_b32 exec_lo, exec_lo, s73
.LBB0_12204:                            ;   in Loop: Header=BB0_7082 Depth=1
	s_and_not1_saveexec_b32 s72, s72
; %bb.12205:                            ;   in Loop: Header=BB0_7082 Depth=1
	s_delay_alu instid0(VALU_DEP_1)
	v_add_nc_u32_e32 v8, 0x6c000000, v8
; %bb.12206:                            ;   in Loop: Header=BB0_7082 Depth=1
	s_or_b32 exec_lo, exec_lo, s72
.LBB0_12207:                            ;   in Loop: Header=BB0_7082 Depth=1
	s_and_not1_saveexec_b32 s71, s71
; %bb.12208:                            ;   in Loop: Header=BB0_7082 Depth=1
	s_delay_alu instid0(VALU_DEP_1)
	v_add_nc_u32_e32 v8, 0x70000000, v8
; %bb.12209:                            ;   in Loop: Header=BB0_7082 Depth=1
	s_or_b32 exec_lo, exec_lo, s71
.LBB0_12210:                            ;   in Loop: Header=BB0_7082 Depth=1
	s_and_not1_saveexec_b32 s70, s70
; %bb.12211:                            ;   in Loop: Header=BB0_7082 Depth=1
	s_delay_alu instid0(VALU_DEP_1)
	v_add_nc_u32_e32 v8, 0x74000000, v8
; %bb.12212:                            ;   in Loop: Header=BB0_7082 Depth=1
	s_or_b32 exec_lo, exec_lo, s70
.LBB0_12213:                            ;   in Loop: Header=BB0_7082 Depth=1
	s_and_not1_saveexec_b32 s69, s69
; %bb.12214:                            ;   in Loop: Header=BB0_7082 Depth=1
	s_delay_alu instid0(VALU_DEP_1)
	v_add_nc_u32_e32 v8, 0x78000000, v8
; %bb.12215:                            ;   in Loop: Header=BB0_7082 Depth=1
	s_or_b32 exec_lo, exec_lo, s69
.LBB0_12216:                            ;   in Loop: Header=BB0_7082 Depth=1
	s_and_not1_saveexec_b32 s68, s68
; %bb.12217:                            ;   in Loop: Header=BB0_7082 Depth=1
	s_delay_alu instid0(VALU_DEP_1)
	v_add_nc_u32_e32 v8, 0x7c000000, v8
; %bb.12218:                            ;   in Loop: Header=BB0_7082 Depth=1
	s_or_b32 exec_lo, exec_lo, s68
	v_dual_mov_b32 v0, s62 :: v_dual_mov_b32 v9, 0x7c
	v_add3_u32 v11, v10, s63, 0x2c000
	s_mov_b32 s68, exec_lo
	ds_load_2addr_b64 v[12:15], v0 offset0:144 offset1:145
	ds_load_b64 v[16:17], v0 offset:1168
	global_store_b32 v11, v8, s[34:35] scale_offset
	s_wait_dscnt 0x1
	v_mul_f64_e32 v[0:1], v[4:5], v[14:15]
	s_delay_alu instid0(VALU_DEP_1) | instskip(SKIP_1) | instid1(VALU_DEP_1)
	v_fmac_f64_e32 v[0:1], v[2:3], v[12:13]
	s_wait_dscnt 0x0
	v_fmac_f64_e32 v[0:1], v[6:7], v[16:17]
	s_wait_xcnt 0x0
	s_delay_alu instid0(VALU_DEP_1)
	v_cmpx_ngt_f64_e32 s[60:61], v[0:1]
	s_cbranch_execz .LBB0_12280
; %bb.12219:                            ;   in Loop: Header=BB0_7082 Depth=1
	v_mov_b32_e32 v9, 0x78
	s_mov_b32 s69, exec_lo
	v_cmpx_ngt_f64_e32 s[66:67], v[0:1]
	s_cbranch_execz .LBB0_12279
; %bb.12220:                            ;   in Loop: Header=BB0_7082 Depth=1
	v_mov_b32_e32 v9, 0x74
	s_mov_b32 s70, exec_lo
	;; [unrolled: 5-line block ×30, first 2 shown]
	v_cmpx_gt_f64_e32 s[36:37], v[0:1]
; %bb.12249:                            ;   in Loop: Header=BB0_7082 Depth=1
	v_mov_b32_e32 v9, 4
; %bb.12250:                            ;   in Loop: Header=BB0_7082 Depth=1
	s_or_b32 exec_lo, exec_lo, s98
.LBB0_12251:                            ;   in Loop: Header=BB0_7082 Depth=1
	s_delay_alu instid0(SALU_CYCLE_1)
	s_or_b32 exec_lo, exec_lo, s97
.LBB0_12252:                            ;   in Loop: Header=BB0_7082 Depth=1
	s_delay_alu instid0(SALU_CYCLE_1)
	s_or_b32 exec_lo, exec_lo, s96
.LBB0_12253:                            ;   in Loop: Header=BB0_7082 Depth=1
	s_delay_alu instid0(SALU_CYCLE_1)
	s_or_b32 exec_lo, exec_lo, s95
.LBB0_12254:                            ;   in Loop: Header=BB0_7082 Depth=1
	s_delay_alu instid0(SALU_CYCLE_1)
	s_or_b32 exec_lo, exec_lo, s94
.LBB0_12255:                            ;   in Loop: Header=BB0_7082 Depth=1
	s_delay_alu instid0(SALU_CYCLE_1)
	s_or_b32 exec_lo, exec_lo, s93
.LBB0_12256:                            ;   in Loop: Header=BB0_7082 Depth=1
	s_delay_alu instid0(SALU_CYCLE_1)
	s_or_b32 exec_lo, exec_lo, s92
.LBB0_12257:                            ;   in Loop: Header=BB0_7082 Depth=1
	s_delay_alu instid0(SALU_CYCLE_1)
	s_or_b32 exec_lo, exec_lo, s91
.LBB0_12258:                            ;   in Loop: Header=BB0_7082 Depth=1
	s_delay_alu instid0(SALU_CYCLE_1)
	s_or_b32 exec_lo, exec_lo, s90
.LBB0_12259:                            ;   in Loop: Header=BB0_7082 Depth=1
	s_delay_alu instid0(SALU_CYCLE_1)
	s_or_b32 exec_lo, exec_lo, s89
.LBB0_12260:                            ;   in Loop: Header=BB0_7082 Depth=1
	s_delay_alu instid0(SALU_CYCLE_1)
	s_or_b32 exec_lo, exec_lo, s88
.LBB0_12261:                            ;   in Loop: Header=BB0_7082 Depth=1
	s_delay_alu instid0(SALU_CYCLE_1)
	s_or_b32 exec_lo, exec_lo, s87
.LBB0_12262:                            ;   in Loop: Header=BB0_7082 Depth=1
	s_delay_alu instid0(SALU_CYCLE_1)
	s_or_b32 exec_lo, exec_lo, s86
.LBB0_12263:                            ;   in Loop: Header=BB0_7082 Depth=1
	s_delay_alu instid0(SALU_CYCLE_1)
	s_or_b32 exec_lo, exec_lo, s85
.LBB0_12264:                            ;   in Loop: Header=BB0_7082 Depth=1
	s_delay_alu instid0(SALU_CYCLE_1)
	s_or_b32 exec_lo, exec_lo, s84
.LBB0_12265:                            ;   in Loop: Header=BB0_7082 Depth=1
	s_delay_alu instid0(SALU_CYCLE_1)
	s_or_b32 exec_lo, exec_lo, s83
.LBB0_12266:                            ;   in Loop: Header=BB0_7082 Depth=1
	s_delay_alu instid0(SALU_CYCLE_1)
	s_or_b32 exec_lo, exec_lo, s82
.LBB0_12267:                            ;   in Loop: Header=BB0_7082 Depth=1
	s_delay_alu instid0(SALU_CYCLE_1)
	s_or_b32 exec_lo, exec_lo, s81
.LBB0_12268:                            ;   in Loop: Header=BB0_7082 Depth=1
	s_delay_alu instid0(SALU_CYCLE_1)
	s_or_b32 exec_lo, exec_lo, s80
.LBB0_12269:                            ;   in Loop: Header=BB0_7082 Depth=1
	s_delay_alu instid0(SALU_CYCLE_1)
	s_or_b32 exec_lo, exec_lo, s79
.LBB0_12270:                            ;   in Loop: Header=BB0_7082 Depth=1
	s_delay_alu instid0(SALU_CYCLE_1)
	s_or_b32 exec_lo, exec_lo, s78
.LBB0_12271:                            ;   in Loop: Header=BB0_7082 Depth=1
	s_delay_alu instid0(SALU_CYCLE_1)
	s_or_b32 exec_lo, exec_lo, s77
.LBB0_12272:                            ;   in Loop: Header=BB0_7082 Depth=1
	s_delay_alu instid0(SALU_CYCLE_1)
	s_or_b32 exec_lo, exec_lo, s76
.LBB0_12273:                            ;   in Loop: Header=BB0_7082 Depth=1
	s_delay_alu instid0(SALU_CYCLE_1)
	s_or_b32 exec_lo, exec_lo, s75
.LBB0_12274:                            ;   in Loop: Header=BB0_7082 Depth=1
	s_delay_alu instid0(SALU_CYCLE_1)
	s_or_b32 exec_lo, exec_lo, s74
.LBB0_12275:                            ;   in Loop: Header=BB0_7082 Depth=1
	s_delay_alu instid0(SALU_CYCLE_1)
	s_or_b32 exec_lo, exec_lo, s73
.LBB0_12276:                            ;   in Loop: Header=BB0_7082 Depth=1
	s_delay_alu instid0(SALU_CYCLE_1)
	s_or_b32 exec_lo, exec_lo, s72
.LBB0_12277:                            ;   in Loop: Header=BB0_7082 Depth=1
	s_delay_alu instid0(SALU_CYCLE_1)
	s_or_b32 exec_lo, exec_lo, s71
.LBB0_12278:                            ;   in Loop: Header=BB0_7082 Depth=1
	s_delay_alu instid0(SALU_CYCLE_1)
	s_or_b32 exec_lo, exec_lo, s70
.LBB0_12279:                            ;   in Loop: Header=BB0_7082 Depth=1
	s_delay_alu instid0(SALU_CYCLE_1)
	s_or_b32 exec_lo, exec_lo, s69
.LBB0_12280:                            ;   in Loop: Header=BB0_7082 Depth=1
	s_delay_alu instid0(SALU_CYCLE_1)
	s_or_b32 exec_lo, exec_lo, s68
	v_mov_b32_e32 v0, s62
	s_mov_b32 s68, exec_lo
	ds_load_2addr_b64 v[12:15], v0 offset0:147 offset1:148
	ds_load_b64 v[16:17], v0 offset:1192
	s_wait_dscnt 0x1
	v_mul_f64_e32 v[0:1], v[4:5], v[14:15]
	s_delay_alu instid0(VALU_DEP_1) | instskip(SKIP_1) | instid1(VALU_DEP_1)
	v_fmac_f64_e32 v[0:1], v[2:3], v[12:13]
	s_wait_dscnt 0x0
	v_fmac_f64_e32 v[0:1], v[6:7], v[16:17]
	s_delay_alu instid0(VALU_DEP_1)
	v_cmpx_ngt_f64_e32 s[60:61], v[0:1]
	s_xor_b32 s68, exec_lo, s68
	s_cbranch_execz .LBB0_12400
; %bb.12281:                            ;   in Loop: Header=BB0_7082 Depth=1
	s_mov_b32 s69, exec_lo
	v_cmpx_ngt_f64_e32 s[66:67], v[0:1]
	s_xor_b32 s69, exec_lo, s69
	s_cbranch_execz .LBB0_12397
; %bb.12282:                            ;   in Loop: Header=BB0_7082 Depth=1
	s_mov_b32 s70, exec_lo
	;; [unrolled: 5-line block ×30, first 2 shown]
	v_cmpx_gt_f64_e32 s[36:37], v[0:1]
; %bb.12311:                            ;   in Loop: Header=BB0_7082 Depth=1
	v_or_b32_e32 v9, 0x400, v9
; %bb.12312:                            ;   in Loop: Header=BB0_7082 Depth=1
	s_or_b32 exec_lo, exec_lo, s98
.LBB0_12313:                            ;   in Loop: Header=BB0_7082 Depth=1
	s_and_not1_saveexec_b32 s97, s97
; %bb.12314:                            ;   in Loop: Header=BB0_7082 Depth=1
	s_delay_alu instid0(VALU_DEP_1)
	v_or_b32_e32 v9, 0x800, v9
; %bb.12315:                            ;   in Loop: Header=BB0_7082 Depth=1
	s_or_b32 exec_lo, exec_lo, s97
.LBB0_12316:                            ;   in Loop: Header=BB0_7082 Depth=1
	s_and_not1_saveexec_b32 s96, s96
; %bb.12317:                            ;   in Loop: Header=BB0_7082 Depth=1
	s_delay_alu instid0(VALU_DEP_1)
	v_or_b32_e32 v9, 0xc00, v9
; %bb.12318:                            ;   in Loop: Header=BB0_7082 Depth=1
	s_or_b32 exec_lo, exec_lo, s96
.LBB0_12319:                            ;   in Loop: Header=BB0_7082 Depth=1
	s_and_not1_saveexec_b32 s95, s95
; %bb.12320:                            ;   in Loop: Header=BB0_7082 Depth=1
	s_delay_alu instid0(VALU_DEP_1)
	v_or_b32_e32 v9, 0x1000, v9
; %bb.12321:                            ;   in Loop: Header=BB0_7082 Depth=1
	s_or_b32 exec_lo, exec_lo, s95
.LBB0_12322:                            ;   in Loop: Header=BB0_7082 Depth=1
	s_and_not1_saveexec_b32 s94, s94
; %bb.12323:                            ;   in Loop: Header=BB0_7082 Depth=1
	s_delay_alu instid0(VALU_DEP_1)
	v_or_b32_e32 v9, 0x1400, v9
; %bb.12324:                            ;   in Loop: Header=BB0_7082 Depth=1
	s_or_b32 exec_lo, exec_lo, s94
.LBB0_12325:                            ;   in Loop: Header=BB0_7082 Depth=1
	s_and_not1_saveexec_b32 s93, s93
; %bb.12326:                            ;   in Loop: Header=BB0_7082 Depth=1
	s_delay_alu instid0(VALU_DEP_1)
	v_or_b32_e32 v9, 0x1800, v9
; %bb.12327:                            ;   in Loop: Header=BB0_7082 Depth=1
	s_or_b32 exec_lo, exec_lo, s93
.LBB0_12328:                            ;   in Loop: Header=BB0_7082 Depth=1
	s_and_not1_saveexec_b32 s92, s92
; %bb.12329:                            ;   in Loop: Header=BB0_7082 Depth=1
	s_delay_alu instid0(VALU_DEP_1)
	v_or_b32_e32 v9, 0x1c00, v9
; %bb.12330:                            ;   in Loop: Header=BB0_7082 Depth=1
	s_or_b32 exec_lo, exec_lo, s92
.LBB0_12331:                            ;   in Loop: Header=BB0_7082 Depth=1
	s_and_not1_saveexec_b32 s91, s91
; %bb.12332:                            ;   in Loop: Header=BB0_7082 Depth=1
	s_delay_alu instid0(VALU_DEP_1)
	v_or_b32_e32 v9, 0x2000, v9
; %bb.12333:                            ;   in Loop: Header=BB0_7082 Depth=1
	s_or_b32 exec_lo, exec_lo, s91
.LBB0_12334:                            ;   in Loop: Header=BB0_7082 Depth=1
	s_and_not1_saveexec_b32 s90, s90
; %bb.12335:                            ;   in Loop: Header=BB0_7082 Depth=1
	s_delay_alu instid0(VALU_DEP_1)
	v_or_b32_e32 v9, 0x2400, v9
; %bb.12336:                            ;   in Loop: Header=BB0_7082 Depth=1
	s_or_b32 exec_lo, exec_lo, s90
.LBB0_12337:                            ;   in Loop: Header=BB0_7082 Depth=1
	s_and_not1_saveexec_b32 s89, s89
; %bb.12338:                            ;   in Loop: Header=BB0_7082 Depth=1
	s_delay_alu instid0(VALU_DEP_1)
	v_or_b32_e32 v9, 0x2800, v9
; %bb.12339:                            ;   in Loop: Header=BB0_7082 Depth=1
	s_or_b32 exec_lo, exec_lo, s89
.LBB0_12340:                            ;   in Loop: Header=BB0_7082 Depth=1
	s_and_not1_saveexec_b32 s88, s88
; %bb.12341:                            ;   in Loop: Header=BB0_7082 Depth=1
	s_delay_alu instid0(VALU_DEP_1)
	v_or_b32_e32 v9, 0x2c00, v9
; %bb.12342:                            ;   in Loop: Header=BB0_7082 Depth=1
	s_or_b32 exec_lo, exec_lo, s88
.LBB0_12343:                            ;   in Loop: Header=BB0_7082 Depth=1
	s_and_not1_saveexec_b32 s87, s87
; %bb.12344:                            ;   in Loop: Header=BB0_7082 Depth=1
	s_delay_alu instid0(VALU_DEP_1)
	v_or_b32_e32 v9, 0x3000, v9
; %bb.12345:                            ;   in Loop: Header=BB0_7082 Depth=1
	s_or_b32 exec_lo, exec_lo, s87
.LBB0_12346:                            ;   in Loop: Header=BB0_7082 Depth=1
	s_and_not1_saveexec_b32 s86, s86
; %bb.12347:                            ;   in Loop: Header=BB0_7082 Depth=1
	s_delay_alu instid0(VALU_DEP_1)
	v_or_b32_e32 v9, 0x3400, v9
; %bb.12348:                            ;   in Loop: Header=BB0_7082 Depth=1
	s_or_b32 exec_lo, exec_lo, s86
.LBB0_12349:                            ;   in Loop: Header=BB0_7082 Depth=1
	s_and_not1_saveexec_b32 s85, s85
; %bb.12350:                            ;   in Loop: Header=BB0_7082 Depth=1
	s_delay_alu instid0(VALU_DEP_1)
	v_or_b32_e32 v9, 0x3800, v9
; %bb.12351:                            ;   in Loop: Header=BB0_7082 Depth=1
	s_or_b32 exec_lo, exec_lo, s85
.LBB0_12352:                            ;   in Loop: Header=BB0_7082 Depth=1
	s_and_not1_saveexec_b32 s84, s84
; %bb.12353:                            ;   in Loop: Header=BB0_7082 Depth=1
	s_delay_alu instid0(VALU_DEP_1)
	v_or_b32_e32 v9, 0x3c00, v9
; %bb.12354:                            ;   in Loop: Header=BB0_7082 Depth=1
	s_or_b32 exec_lo, exec_lo, s84
.LBB0_12355:                            ;   in Loop: Header=BB0_7082 Depth=1
	s_and_not1_saveexec_b32 s83, s83
; %bb.12356:                            ;   in Loop: Header=BB0_7082 Depth=1
	s_delay_alu instid0(VALU_DEP_1)
	v_or_b32_e32 v9, 0x4000, v9
; %bb.12357:                            ;   in Loop: Header=BB0_7082 Depth=1
	s_or_b32 exec_lo, exec_lo, s83
.LBB0_12358:                            ;   in Loop: Header=BB0_7082 Depth=1
	s_and_not1_saveexec_b32 s82, s82
; %bb.12359:                            ;   in Loop: Header=BB0_7082 Depth=1
	s_delay_alu instid0(VALU_DEP_1)
	v_or_b32_e32 v9, 0x4400, v9
; %bb.12360:                            ;   in Loop: Header=BB0_7082 Depth=1
	s_or_b32 exec_lo, exec_lo, s82
.LBB0_12361:                            ;   in Loop: Header=BB0_7082 Depth=1
	s_and_not1_saveexec_b32 s81, s81
; %bb.12362:                            ;   in Loop: Header=BB0_7082 Depth=1
	s_delay_alu instid0(VALU_DEP_1)
	v_or_b32_e32 v9, 0x4800, v9
; %bb.12363:                            ;   in Loop: Header=BB0_7082 Depth=1
	s_or_b32 exec_lo, exec_lo, s81
.LBB0_12364:                            ;   in Loop: Header=BB0_7082 Depth=1
	s_and_not1_saveexec_b32 s80, s80
; %bb.12365:                            ;   in Loop: Header=BB0_7082 Depth=1
	s_delay_alu instid0(VALU_DEP_1)
	v_or_b32_e32 v9, 0x4c00, v9
; %bb.12366:                            ;   in Loop: Header=BB0_7082 Depth=1
	s_or_b32 exec_lo, exec_lo, s80
.LBB0_12367:                            ;   in Loop: Header=BB0_7082 Depth=1
	s_and_not1_saveexec_b32 s79, s79
; %bb.12368:                            ;   in Loop: Header=BB0_7082 Depth=1
	s_delay_alu instid0(VALU_DEP_1)
	v_or_b32_e32 v9, 0x5000, v9
; %bb.12369:                            ;   in Loop: Header=BB0_7082 Depth=1
	s_or_b32 exec_lo, exec_lo, s79
.LBB0_12370:                            ;   in Loop: Header=BB0_7082 Depth=1
	s_and_not1_saveexec_b32 s78, s78
; %bb.12371:                            ;   in Loop: Header=BB0_7082 Depth=1
	s_delay_alu instid0(VALU_DEP_1)
	v_or_b32_e32 v9, 0x5400, v9
; %bb.12372:                            ;   in Loop: Header=BB0_7082 Depth=1
	s_or_b32 exec_lo, exec_lo, s78
.LBB0_12373:                            ;   in Loop: Header=BB0_7082 Depth=1
	s_and_not1_saveexec_b32 s77, s77
; %bb.12374:                            ;   in Loop: Header=BB0_7082 Depth=1
	s_delay_alu instid0(VALU_DEP_1)
	v_or_b32_e32 v9, 0x5800, v9
; %bb.12375:                            ;   in Loop: Header=BB0_7082 Depth=1
	s_or_b32 exec_lo, exec_lo, s77
.LBB0_12376:                            ;   in Loop: Header=BB0_7082 Depth=1
	s_and_not1_saveexec_b32 s76, s76
; %bb.12377:                            ;   in Loop: Header=BB0_7082 Depth=1
	s_delay_alu instid0(VALU_DEP_1)
	v_or_b32_e32 v9, 0x5c00, v9
; %bb.12378:                            ;   in Loop: Header=BB0_7082 Depth=1
	s_or_b32 exec_lo, exec_lo, s76
.LBB0_12379:                            ;   in Loop: Header=BB0_7082 Depth=1
	s_and_not1_saveexec_b32 s75, s75
; %bb.12380:                            ;   in Loop: Header=BB0_7082 Depth=1
	s_delay_alu instid0(VALU_DEP_1)
	v_or_b32_e32 v9, 0x6000, v9
; %bb.12381:                            ;   in Loop: Header=BB0_7082 Depth=1
	s_or_b32 exec_lo, exec_lo, s75
.LBB0_12382:                            ;   in Loop: Header=BB0_7082 Depth=1
	s_and_not1_saveexec_b32 s74, s74
; %bb.12383:                            ;   in Loop: Header=BB0_7082 Depth=1
	s_delay_alu instid0(VALU_DEP_1)
	v_or_b32_e32 v9, 0x6400, v9
; %bb.12384:                            ;   in Loop: Header=BB0_7082 Depth=1
	s_or_b32 exec_lo, exec_lo, s74
.LBB0_12385:                            ;   in Loop: Header=BB0_7082 Depth=1
	s_and_not1_saveexec_b32 s73, s73
; %bb.12386:                            ;   in Loop: Header=BB0_7082 Depth=1
	s_delay_alu instid0(VALU_DEP_1)
	v_or_b32_e32 v9, 0x6800, v9
; %bb.12387:                            ;   in Loop: Header=BB0_7082 Depth=1
	s_or_b32 exec_lo, exec_lo, s73
.LBB0_12388:                            ;   in Loop: Header=BB0_7082 Depth=1
	s_and_not1_saveexec_b32 s72, s72
; %bb.12389:                            ;   in Loop: Header=BB0_7082 Depth=1
	s_delay_alu instid0(VALU_DEP_1)
	v_or_b32_e32 v9, 0x6c00, v9
; %bb.12390:                            ;   in Loop: Header=BB0_7082 Depth=1
	s_or_b32 exec_lo, exec_lo, s72
.LBB0_12391:                            ;   in Loop: Header=BB0_7082 Depth=1
	s_and_not1_saveexec_b32 s71, s71
; %bb.12392:                            ;   in Loop: Header=BB0_7082 Depth=1
	s_delay_alu instid0(VALU_DEP_1)
	v_or_b32_e32 v9, 0x7000, v9
; %bb.12393:                            ;   in Loop: Header=BB0_7082 Depth=1
	s_or_b32 exec_lo, exec_lo, s71
.LBB0_12394:                            ;   in Loop: Header=BB0_7082 Depth=1
	s_and_not1_saveexec_b32 s70, s70
; %bb.12395:                            ;   in Loop: Header=BB0_7082 Depth=1
	s_delay_alu instid0(VALU_DEP_1)
	v_or_b32_e32 v9, 0x7400, v9
; %bb.12396:                            ;   in Loop: Header=BB0_7082 Depth=1
	s_or_b32 exec_lo, exec_lo, s70
.LBB0_12397:                            ;   in Loop: Header=BB0_7082 Depth=1
	s_and_not1_saveexec_b32 s69, s69
; %bb.12398:                            ;   in Loop: Header=BB0_7082 Depth=1
	s_delay_alu instid0(VALU_DEP_1)
	v_or_b32_e32 v9, 0x7800, v9
; %bb.12399:                            ;   in Loop: Header=BB0_7082 Depth=1
	s_or_b32 exec_lo, exec_lo, s69
.LBB0_12400:                            ;   in Loop: Header=BB0_7082 Depth=1
	s_and_not1_saveexec_b32 s68, s68
; %bb.12401:                            ;   in Loop: Header=BB0_7082 Depth=1
	s_delay_alu instid0(VALU_DEP_1)
	v_or_b32_e32 v9, 0x7c00, v9
; %bb.12402:                            ;   in Loop: Header=BB0_7082 Depth=1
	s_or_b32 exec_lo, exec_lo, s68
	v_mov_b32_e32 v0, s62
	s_mov_b32 s68, exec_lo
	ds_load_2addr_b64 v[12:15], v0 offset0:150 offset1:151
	ds_load_b64 v[16:17], v0 offset:1216
	s_wait_dscnt 0x1
	v_mul_f64_e32 v[0:1], v[4:5], v[14:15]
	s_delay_alu instid0(VALU_DEP_1) | instskip(SKIP_1) | instid1(VALU_DEP_1)
	v_fmac_f64_e32 v[0:1], v[2:3], v[12:13]
	s_wait_dscnt 0x0
	v_fmac_f64_e32 v[0:1], v[6:7], v[16:17]
	s_delay_alu instid0(VALU_DEP_1)
	v_cmpx_ngt_f64_e32 s[60:61], v[0:1]
	s_xor_b32 s68, exec_lo, s68
	s_cbranch_execz .LBB0_12522
; %bb.12403:                            ;   in Loop: Header=BB0_7082 Depth=1
	s_mov_b32 s69, exec_lo
	v_cmpx_ngt_f64_e32 s[66:67], v[0:1]
	s_xor_b32 s69, exec_lo, s69
	s_cbranch_execz .LBB0_12519
; %bb.12404:                            ;   in Loop: Header=BB0_7082 Depth=1
	s_mov_b32 s70, exec_lo
	;; [unrolled: 5-line block ×30, first 2 shown]
	v_cmpx_gt_f64_e32 s[36:37], v[0:1]
; %bb.12433:                            ;   in Loop: Header=BB0_7082 Depth=1
	v_add_nc_u32_e32 v9, 0x40000, v9
; %bb.12434:                            ;   in Loop: Header=BB0_7082 Depth=1
	s_or_b32 exec_lo, exec_lo, s98
.LBB0_12435:                            ;   in Loop: Header=BB0_7082 Depth=1
	s_and_not1_saveexec_b32 s97, s97
; %bb.12436:                            ;   in Loop: Header=BB0_7082 Depth=1
	s_delay_alu instid0(VALU_DEP_1)
	v_add_nc_u32_e32 v9, 0x80000, v9
; %bb.12437:                            ;   in Loop: Header=BB0_7082 Depth=1
	s_or_b32 exec_lo, exec_lo, s97
.LBB0_12438:                            ;   in Loop: Header=BB0_7082 Depth=1
	s_and_not1_saveexec_b32 s96, s96
; %bb.12439:                            ;   in Loop: Header=BB0_7082 Depth=1
	s_delay_alu instid0(VALU_DEP_1)
	v_add_nc_u32_e32 v9, 0xc0000, v9
; %bb.12440:                            ;   in Loop: Header=BB0_7082 Depth=1
	s_or_b32 exec_lo, exec_lo, s96
.LBB0_12441:                            ;   in Loop: Header=BB0_7082 Depth=1
	s_and_not1_saveexec_b32 s95, s95
; %bb.12442:                            ;   in Loop: Header=BB0_7082 Depth=1
	s_delay_alu instid0(VALU_DEP_1)
	v_add_nc_u32_e32 v9, 0x100000, v9
; %bb.12443:                            ;   in Loop: Header=BB0_7082 Depth=1
	s_or_b32 exec_lo, exec_lo, s95
.LBB0_12444:                            ;   in Loop: Header=BB0_7082 Depth=1
	s_and_not1_saveexec_b32 s94, s94
; %bb.12445:                            ;   in Loop: Header=BB0_7082 Depth=1
	s_delay_alu instid0(VALU_DEP_1)
	v_add_nc_u32_e32 v9, 0x140000, v9
; %bb.12446:                            ;   in Loop: Header=BB0_7082 Depth=1
	s_or_b32 exec_lo, exec_lo, s94
.LBB0_12447:                            ;   in Loop: Header=BB0_7082 Depth=1
	s_and_not1_saveexec_b32 s93, s93
; %bb.12448:                            ;   in Loop: Header=BB0_7082 Depth=1
	s_delay_alu instid0(VALU_DEP_1)
	v_add_nc_u32_e32 v9, 0x180000, v9
; %bb.12449:                            ;   in Loop: Header=BB0_7082 Depth=1
	s_or_b32 exec_lo, exec_lo, s93
.LBB0_12450:                            ;   in Loop: Header=BB0_7082 Depth=1
	s_and_not1_saveexec_b32 s92, s92
; %bb.12451:                            ;   in Loop: Header=BB0_7082 Depth=1
	s_delay_alu instid0(VALU_DEP_1)
	v_add_nc_u32_e32 v9, 0x1c0000, v9
; %bb.12452:                            ;   in Loop: Header=BB0_7082 Depth=1
	s_or_b32 exec_lo, exec_lo, s92
.LBB0_12453:                            ;   in Loop: Header=BB0_7082 Depth=1
	s_and_not1_saveexec_b32 s91, s91
; %bb.12454:                            ;   in Loop: Header=BB0_7082 Depth=1
	s_delay_alu instid0(VALU_DEP_1)
	v_add_nc_u32_e32 v9, 0x200000, v9
; %bb.12455:                            ;   in Loop: Header=BB0_7082 Depth=1
	s_or_b32 exec_lo, exec_lo, s91
.LBB0_12456:                            ;   in Loop: Header=BB0_7082 Depth=1
	s_and_not1_saveexec_b32 s90, s90
; %bb.12457:                            ;   in Loop: Header=BB0_7082 Depth=1
	s_delay_alu instid0(VALU_DEP_1)
	v_add_nc_u32_e32 v9, 0x240000, v9
; %bb.12458:                            ;   in Loop: Header=BB0_7082 Depth=1
	s_or_b32 exec_lo, exec_lo, s90
.LBB0_12459:                            ;   in Loop: Header=BB0_7082 Depth=1
	s_and_not1_saveexec_b32 s89, s89
; %bb.12460:                            ;   in Loop: Header=BB0_7082 Depth=1
	s_delay_alu instid0(VALU_DEP_1)
	v_add_nc_u32_e32 v9, 0x280000, v9
; %bb.12461:                            ;   in Loop: Header=BB0_7082 Depth=1
	s_or_b32 exec_lo, exec_lo, s89
.LBB0_12462:                            ;   in Loop: Header=BB0_7082 Depth=1
	s_and_not1_saveexec_b32 s88, s88
; %bb.12463:                            ;   in Loop: Header=BB0_7082 Depth=1
	s_delay_alu instid0(VALU_DEP_1)
	v_add_nc_u32_e32 v9, 0x2c0000, v9
; %bb.12464:                            ;   in Loop: Header=BB0_7082 Depth=1
	s_or_b32 exec_lo, exec_lo, s88
.LBB0_12465:                            ;   in Loop: Header=BB0_7082 Depth=1
	s_and_not1_saveexec_b32 s87, s87
; %bb.12466:                            ;   in Loop: Header=BB0_7082 Depth=1
	s_delay_alu instid0(VALU_DEP_1)
	v_add_nc_u32_e32 v9, 0x300000, v9
; %bb.12467:                            ;   in Loop: Header=BB0_7082 Depth=1
	s_or_b32 exec_lo, exec_lo, s87
.LBB0_12468:                            ;   in Loop: Header=BB0_7082 Depth=1
	s_and_not1_saveexec_b32 s86, s86
; %bb.12469:                            ;   in Loop: Header=BB0_7082 Depth=1
	s_delay_alu instid0(VALU_DEP_1)
	v_add_nc_u32_e32 v9, 0x340000, v9
; %bb.12470:                            ;   in Loop: Header=BB0_7082 Depth=1
	s_or_b32 exec_lo, exec_lo, s86
.LBB0_12471:                            ;   in Loop: Header=BB0_7082 Depth=1
	s_and_not1_saveexec_b32 s85, s85
; %bb.12472:                            ;   in Loop: Header=BB0_7082 Depth=1
	s_delay_alu instid0(VALU_DEP_1)
	v_add_nc_u32_e32 v9, 0x380000, v9
; %bb.12473:                            ;   in Loop: Header=BB0_7082 Depth=1
	s_or_b32 exec_lo, exec_lo, s85
.LBB0_12474:                            ;   in Loop: Header=BB0_7082 Depth=1
	s_and_not1_saveexec_b32 s84, s84
; %bb.12475:                            ;   in Loop: Header=BB0_7082 Depth=1
	s_delay_alu instid0(VALU_DEP_1)
	v_add_nc_u32_e32 v9, 0x3c0000, v9
; %bb.12476:                            ;   in Loop: Header=BB0_7082 Depth=1
	s_or_b32 exec_lo, exec_lo, s84
.LBB0_12477:                            ;   in Loop: Header=BB0_7082 Depth=1
	s_and_not1_saveexec_b32 s83, s83
; %bb.12478:                            ;   in Loop: Header=BB0_7082 Depth=1
	s_delay_alu instid0(VALU_DEP_1)
	v_add_nc_u32_e32 v9, 0x400000, v9
; %bb.12479:                            ;   in Loop: Header=BB0_7082 Depth=1
	s_or_b32 exec_lo, exec_lo, s83
.LBB0_12480:                            ;   in Loop: Header=BB0_7082 Depth=1
	s_and_not1_saveexec_b32 s82, s82
; %bb.12481:                            ;   in Loop: Header=BB0_7082 Depth=1
	s_delay_alu instid0(VALU_DEP_1)
	v_add_nc_u32_e32 v9, 0x440000, v9
; %bb.12482:                            ;   in Loop: Header=BB0_7082 Depth=1
	s_or_b32 exec_lo, exec_lo, s82
.LBB0_12483:                            ;   in Loop: Header=BB0_7082 Depth=1
	s_and_not1_saveexec_b32 s81, s81
; %bb.12484:                            ;   in Loop: Header=BB0_7082 Depth=1
	s_delay_alu instid0(VALU_DEP_1)
	v_add_nc_u32_e32 v9, 0x480000, v9
; %bb.12485:                            ;   in Loop: Header=BB0_7082 Depth=1
	s_or_b32 exec_lo, exec_lo, s81
.LBB0_12486:                            ;   in Loop: Header=BB0_7082 Depth=1
	s_and_not1_saveexec_b32 s80, s80
; %bb.12487:                            ;   in Loop: Header=BB0_7082 Depth=1
	s_delay_alu instid0(VALU_DEP_1)
	v_add_nc_u32_e32 v9, 0x4c0000, v9
; %bb.12488:                            ;   in Loop: Header=BB0_7082 Depth=1
	s_or_b32 exec_lo, exec_lo, s80
.LBB0_12489:                            ;   in Loop: Header=BB0_7082 Depth=1
	s_and_not1_saveexec_b32 s79, s79
; %bb.12490:                            ;   in Loop: Header=BB0_7082 Depth=1
	s_delay_alu instid0(VALU_DEP_1)
	v_add_nc_u32_e32 v9, 0x500000, v9
; %bb.12491:                            ;   in Loop: Header=BB0_7082 Depth=1
	s_or_b32 exec_lo, exec_lo, s79
.LBB0_12492:                            ;   in Loop: Header=BB0_7082 Depth=1
	s_and_not1_saveexec_b32 s78, s78
; %bb.12493:                            ;   in Loop: Header=BB0_7082 Depth=1
	s_delay_alu instid0(VALU_DEP_1)
	v_add_nc_u32_e32 v9, 0x540000, v9
; %bb.12494:                            ;   in Loop: Header=BB0_7082 Depth=1
	s_or_b32 exec_lo, exec_lo, s78
.LBB0_12495:                            ;   in Loop: Header=BB0_7082 Depth=1
	s_and_not1_saveexec_b32 s77, s77
; %bb.12496:                            ;   in Loop: Header=BB0_7082 Depth=1
	s_delay_alu instid0(VALU_DEP_1)
	v_add_nc_u32_e32 v9, 0x580000, v9
; %bb.12497:                            ;   in Loop: Header=BB0_7082 Depth=1
	s_or_b32 exec_lo, exec_lo, s77
.LBB0_12498:                            ;   in Loop: Header=BB0_7082 Depth=1
	s_and_not1_saveexec_b32 s76, s76
; %bb.12499:                            ;   in Loop: Header=BB0_7082 Depth=1
	s_delay_alu instid0(VALU_DEP_1)
	v_add_nc_u32_e32 v9, 0x5c0000, v9
; %bb.12500:                            ;   in Loop: Header=BB0_7082 Depth=1
	s_or_b32 exec_lo, exec_lo, s76
.LBB0_12501:                            ;   in Loop: Header=BB0_7082 Depth=1
	s_and_not1_saveexec_b32 s75, s75
; %bb.12502:                            ;   in Loop: Header=BB0_7082 Depth=1
	s_delay_alu instid0(VALU_DEP_1)
	v_add_nc_u32_e32 v9, 0x600000, v9
; %bb.12503:                            ;   in Loop: Header=BB0_7082 Depth=1
	s_or_b32 exec_lo, exec_lo, s75
.LBB0_12504:                            ;   in Loop: Header=BB0_7082 Depth=1
	s_and_not1_saveexec_b32 s74, s74
; %bb.12505:                            ;   in Loop: Header=BB0_7082 Depth=1
	s_delay_alu instid0(VALU_DEP_1)
	v_add_nc_u32_e32 v9, 0x640000, v9
; %bb.12506:                            ;   in Loop: Header=BB0_7082 Depth=1
	s_or_b32 exec_lo, exec_lo, s74
.LBB0_12507:                            ;   in Loop: Header=BB0_7082 Depth=1
	s_and_not1_saveexec_b32 s73, s73
; %bb.12508:                            ;   in Loop: Header=BB0_7082 Depth=1
	s_delay_alu instid0(VALU_DEP_1)
	v_add_nc_u32_e32 v9, 0x680000, v9
; %bb.12509:                            ;   in Loop: Header=BB0_7082 Depth=1
	s_or_b32 exec_lo, exec_lo, s73
.LBB0_12510:                            ;   in Loop: Header=BB0_7082 Depth=1
	s_and_not1_saveexec_b32 s72, s72
; %bb.12511:                            ;   in Loop: Header=BB0_7082 Depth=1
	s_delay_alu instid0(VALU_DEP_1)
	v_add_nc_u32_e32 v9, 0x6c0000, v9
; %bb.12512:                            ;   in Loop: Header=BB0_7082 Depth=1
	s_or_b32 exec_lo, exec_lo, s72
.LBB0_12513:                            ;   in Loop: Header=BB0_7082 Depth=1
	s_and_not1_saveexec_b32 s71, s71
; %bb.12514:                            ;   in Loop: Header=BB0_7082 Depth=1
	s_delay_alu instid0(VALU_DEP_1)
	v_add_nc_u32_e32 v9, 0x700000, v9
; %bb.12515:                            ;   in Loop: Header=BB0_7082 Depth=1
	s_or_b32 exec_lo, exec_lo, s71
.LBB0_12516:                            ;   in Loop: Header=BB0_7082 Depth=1
	s_and_not1_saveexec_b32 s70, s70
; %bb.12517:                            ;   in Loop: Header=BB0_7082 Depth=1
	s_delay_alu instid0(VALU_DEP_1)
	v_add_nc_u32_e32 v9, 0x740000, v9
; %bb.12518:                            ;   in Loop: Header=BB0_7082 Depth=1
	s_or_b32 exec_lo, exec_lo, s70
.LBB0_12519:                            ;   in Loop: Header=BB0_7082 Depth=1
	s_and_not1_saveexec_b32 s69, s69
; %bb.12520:                            ;   in Loop: Header=BB0_7082 Depth=1
	s_delay_alu instid0(VALU_DEP_1)
	v_add_nc_u32_e32 v9, 0x780000, v9
; %bb.12521:                            ;   in Loop: Header=BB0_7082 Depth=1
	s_or_b32 exec_lo, exec_lo, s69
.LBB0_12522:                            ;   in Loop: Header=BB0_7082 Depth=1
	s_and_not1_saveexec_b32 s68, s68
; %bb.12523:                            ;   in Loop: Header=BB0_7082 Depth=1
	s_delay_alu instid0(VALU_DEP_1)
	v_add_nc_u32_e32 v9, 0x7c0000, v9
; %bb.12524:                            ;   in Loop: Header=BB0_7082 Depth=1
	s_or_b32 exec_lo, exec_lo, s68
	v_mov_b32_e32 v0, s62
	s_mov_b32 s68, exec_lo
	ds_load_2addr_b64 v[12:15], v0 offset0:153 offset1:154
	ds_load_b64 v[16:17], v0 offset:1240
	s_wait_dscnt 0x1
	v_mul_f64_e32 v[0:1], v[4:5], v[14:15]
	s_delay_alu instid0(VALU_DEP_1) | instskip(SKIP_1) | instid1(VALU_DEP_1)
	v_fmac_f64_e32 v[0:1], v[2:3], v[12:13]
	s_wait_dscnt 0x0
	v_fmac_f64_e32 v[0:1], v[6:7], v[16:17]
	s_delay_alu instid0(VALU_DEP_1)
	v_cmpx_ngt_f64_e32 s[60:61], v[0:1]
	s_xor_b32 s68, exec_lo, s68
	s_cbranch_execz .LBB0_12644
; %bb.12525:                            ;   in Loop: Header=BB0_7082 Depth=1
	s_mov_b32 s69, exec_lo
	v_cmpx_ngt_f64_e32 s[66:67], v[0:1]
	s_xor_b32 s69, exec_lo, s69
	s_cbranch_execz .LBB0_12641
; %bb.12526:                            ;   in Loop: Header=BB0_7082 Depth=1
	s_mov_b32 s70, exec_lo
	v_cmpx_ngt_f64_e32 s[64:65], v[0:1]
	s_xor_b32 s70, exec_lo, s70
	s_cbranch_execz .LBB0_12638
; %bb.12527:                            ;   in Loop: Header=BB0_7082 Depth=1
	s_mov_b32 s71, exec_lo
	v_cmpx_ngt_f64_e32 s[58:59], v[0:1]
	s_xor_b32 s71, exec_lo, s71
	s_cbranch_execz .LBB0_12635
; %bb.12528:                            ;   in Loop: Header=BB0_7082 Depth=1
	s_mov_b32 s72, exec_lo
	v_cmpx_ngt_f64_e32 s[56:57], v[0:1]
	s_xor_b32 s72, exec_lo, s72
	s_cbranch_execz .LBB0_12632
; %bb.12529:                            ;   in Loop: Header=BB0_7082 Depth=1
	s_mov_b32 s73, exec_lo
	v_cmpx_ngt_f64_e32 s[54:55], v[0:1]
	s_xor_b32 s73, exec_lo, s73
	s_cbranch_execz .LBB0_12629
; %bb.12530:                            ;   in Loop: Header=BB0_7082 Depth=1
	s_mov_b32 s74, exec_lo
	v_cmpx_ngt_f64_e32 s[52:53], v[0:1]
	s_xor_b32 s74, exec_lo, s74
	s_cbranch_execz .LBB0_12626
; %bb.12531:                            ;   in Loop: Header=BB0_7082 Depth=1
	s_mov_b32 s75, exec_lo
	v_cmpx_ngt_f64_e32 s[14:15], v[0:1]
	s_xor_b32 s75, exec_lo, s75
	s_cbranch_execz .LBB0_12623
; %bb.12532:                            ;   in Loop: Header=BB0_7082 Depth=1
	s_mov_b32 s76, exec_lo
	v_cmpx_ngt_f64_e32 s[12:13], v[0:1]
	s_xor_b32 s76, exec_lo, s76
	s_cbranch_execz .LBB0_12620
; %bb.12533:                            ;   in Loop: Header=BB0_7082 Depth=1
	s_mov_b32 s77, exec_lo
	v_cmpx_ngt_f64_e32 s[10:11], v[0:1]
	s_xor_b32 s77, exec_lo, s77
	s_cbranch_execz .LBB0_12617
; %bb.12534:                            ;   in Loop: Header=BB0_7082 Depth=1
	s_mov_b32 s78, exec_lo
	v_cmpx_ngt_f64_e32 s[8:9], v[0:1]
	s_xor_b32 s78, exec_lo, s78
	s_cbranch_execz .LBB0_12614
; %bb.12535:                            ;   in Loop: Header=BB0_7082 Depth=1
	s_mov_b32 s79, exec_lo
	v_cmpx_ngt_f64_e32 s[6:7], v[0:1]
	s_xor_b32 s79, exec_lo, s79
	s_cbranch_execz .LBB0_12611
; %bb.12536:                            ;   in Loop: Header=BB0_7082 Depth=1
	s_mov_b32 s80, exec_lo
	v_cmpx_ngt_f64_e32 s[4:5], v[0:1]
	s_xor_b32 s80, exec_lo, s80
	s_cbranch_execz .LBB0_12608
; %bb.12537:                            ;   in Loop: Header=BB0_7082 Depth=1
	s_mov_b32 s81, exec_lo
	v_cmpx_ngt_f64_e32 s[2:3], v[0:1]
	s_xor_b32 s81, exec_lo, s81
	s_cbranch_execz .LBB0_12605
; %bb.12538:                            ;   in Loop: Header=BB0_7082 Depth=1
	s_mov_b32 s82, exec_lo
	v_cmpx_ngt_f64_e32 s[0:1], v[0:1]
	s_xor_b32 s82, exec_lo, s82
	s_cbranch_execz .LBB0_12602
; %bb.12539:                            ;   in Loop: Header=BB0_7082 Depth=1
	s_mov_b32 s83, exec_lo
	v_cmpx_ngt_f64_e32 s[30:31], v[0:1]
	s_xor_b32 s83, exec_lo, s83
	s_cbranch_execz .LBB0_12599
; %bb.12540:                            ;   in Loop: Header=BB0_7082 Depth=1
	s_mov_b32 s84, exec_lo
	v_cmpx_ngt_f64_e32 s[28:29], v[0:1]
	s_xor_b32 s84, exec_lo, s84
	s_cbranch_execz .LBB0_12596
; %bb.12541:                            ;   in Loop: Header=BB0_7082 Depth=1
	s_mov_b32 s85, exec_lo
	v_cmpx_ngt_f64_e32 s[26:27], v[0:1]
	s_xor_b32 s85, exec_lo, s85
	s_cbranch_execz .LBB0_12593
; %bb.12542:                            ;   in Loop: Header=BB0_7082 Depth=1
	s_mov_b32 s86, exec_lo
	v_cmpx_ngt_f64_e32 s[24:25], v[0:1]
	s_xor_b32 s86, exec_lo, s86
	s_cbranch_execz .LBB0_12590
; %bb.12543:                            ;   in Loop: Header=BB0_7082 Depth=1
	s_mov_b32 s87, exec_lo
	v_cmpx_ngt_f64_e32 s[22:23], v[0:1]
	s_xor_b32 s87, exec_lo, s87
	s_cbranch_execz .LBB0_12587
; %bb.12544:                            ;   in Loop: Header=BB0_7082 Depth=1
	s_mov_b32 s88, exec_lo
	v_cmpx_ngt_f64_e32 s[20:21], v[0:1]
	s_xor_b32 s88, exec_lo, s88
	s_cbranch_execz .LBB0_12584
; %bb.12545:                            ;   in Loop: Header=BB0_7082 Depth=1
	s_mov_b32 s89, exec_lo
	v_cmpx_ngt_f64_e32 s[18:19], v[0:1]
	s_xor_b32 s89, exec_lo, s89
	s_cbranch_execz .LBB0_12581
; %bb.12546:                            ;   in Loop: Header=BB0_7082 Depth=1
	s_mov_b32 s90, exec_lo
	v_cmpx_ngt_f64_e32 s[16:17], v[0:1]
	s_xor_b32 s90, exec_lo, s90
	s_cbranch_execz .LBB0_12578
; %bb.12547:                            ;   in Loop: Header=BB0_7082 Depth=1
	s_mov_b32 s91, exec_lo
	v_cmpx_ngt_f64_e32 s[50:51], v[0:1]
	s_xor_b32 s91, exec_lo, s91
	s_cbranch_execz .LBB0_12575
; %bb.12548:                            ;   in Loop: Header=BB0_7082 Depth=1
	s_mov_b32 s92, exec_lo
	v_cmpx_ngt_f64_e32 s[48:49], v[0:1]
	s_xor_b32 s92, exec_lo, s92
	s_cbranch_execz .LBB0_12572
; %bb.12549:                            ;   in Loop: Header=BB0_7082 Depth=1
	s_mov_b32 s93, exec_lo
	v_cmpx_ngt_f64_e32 s[46:47], v[0:1]
	s_xor_b32 s93, exec_lo, s93
	s_cbranch_execz .LBB0_12569
; %bb.12550:                            ;   in Loop: Header=BB0_7082 Depth=1
	s_mov_b32 s94, exec_lo
	v_cmpx_ngt_f64_e32 s[44:45], v[0:1]
	s_xor_b32 s94, exec_lo, s94
	s_cbranch_execz .LBB0_12566
; %bb.12551:                            ;   in Loop: Header=BB0_7082 Depth=1
	s_mov_b32 s95, exec_lo
	v_cmpx_ngt_f64_e32 s[42:43], v[0:1]
	s_xor_b32 s95, exec_lo, s95
	s_cbranch_execz .LBB0_12563
; %bb.12552:                            ;   in Loop: Header=BB0_7082 Depth=1
	s_mov_b32 s96, exec_lo
	v_cmpx_ngt_f64_e32 s[40:41], v[0:1]
	s_xor_b32 s96, exec_lo, s96
	s_cbranch_execz .LBB0_12560
; %bb.12553:                            ;   in Loop: Header=BB0_7082 Depth=1
	s_mov_b32 s97, exec_lo
	v_cmpx_ngt_f64_e32 s[38:39], v[0:1]
	s_xor_b32 s97, exec_lo, s97
	s_cbranch_execz .LBB0_12557
; %bb.12554:                            ;   in Loop: Header=BB0_7082 Depth=1
	s_mov_b32 s98, exec_lo
	v_cmpx_gt_f64_e32 s[36:37], v[0:1]
; %bb.12555:                            ;   in Loop: Header=BB0_7082 Depth=1
	v_add_nc_u32_e32 v9, 0x4000000, v9
; %bb.12556:                            ;   in Loop: Header=BB0_7082 Depth=1
	s_or_b32 exec_lo, exec_lo, s98
.LBB0_12557:                            ;   in Loop: Header=BB0_7082 Depth=1
	s_and_not1_saveexec_b32 s97, s97
; %bb.12558:                            ;   in Loop: Header=BB0_7082 Depth=1
	s_delay_alu instid0(VALU_DEP_1)
	v_add_nc_u32_e32 v9, 0x8000000, v9
; %bb.12559:                            ;   in Loop: Header=BB0_7082 Depth=1
	s_or_b32 exec_lo, exec_lo, s97
.LBB0_12560:                            ;   in Loop: Header=BB0_7082 Depth=1
	s_and_not1_saveexec_b32 s96, s96
; %bb.12561:                            ;   in Loop: Header=BB0_7082 Depth=1
	s_delay_alu instid0(VALU_DEP_1)
	v_add_nc_u32_e32 v9, 0xc000000, v9
; %bb.12562:                            ;   in Loop: Header=BB0_7082 Depth=1
	s_or_b32 exec_lo, exec_lo, s96
.LBB0_12563:                            ;   in Loop: Header=BB0_7082 Depth=1
	s_and_not1_saveexec_b32 s95, s95
; %bb.12564:                            ;   in Loop: Header=BB0_7082 Depth=1
	s_delay_alu instid0(VALU_DEP_1)
	v_add_nc_u32_e32 v9, 0x10000000, v9
; %bb.12565:                            ;   in Loop: Header=BB0_7082 Depth=1
	s_or_b32 exec_lo, exec_lo, s95
.LBB0_12566:                            ;   in Loop: Header=BB0_7082 Depth=1
	s_and_not1_saveexec_b32 s94, s94
; %bb.12567:                            ;   in Loop: Header=BB0_7082 Depth=1
	s_delay_alu instid0(VALU_DEP_1)
	v_add_nc_u32_e32 v9, 0x14000000, v9
; %bb.12568:                            ;   in Loop: Header=BB0_7082 Depth=1
	s_or_b32 exec_lo, exec_lo, s94
.LBB0_12569:                            ;   in Loop: Header=BB0_7082 Depth=1
	s_and_not1_saveexec_b32 s93, s93
; %bb.12570:                            ;   in Loop: Header=BB0_7082 Depth=1
	s_delay_alu instid0(VALU_DEP_1)
	v_add_nc_u32_e32 v9, 0x18000000, v9
; %bb.12571:                            ;   in Loop: Header=BB0_7082 Depth=1
	s_or_b32 exec_lo, exec_lo, s93
.LBB0_12572:                            ;   in Loop: Header=BB0_7082 Depth=1
	s_and_not1_saveexec_b32 s92, s92
; %bb.12573:                            ;   in Loop: Header=BB0_7082 Depth=1
	s_delay_alu instid0(VALU_DEP_1)
	v_add_nc_u32_e32 v9, 0x1c000000, v9
; %bb.12574:                            ;   in Loop: Header=BB0_7082 Depth=1
	s_or_b32 exec_lo, exec_lo, s92
.LBB0_12575:                            ;   in Loop: Header=BB0_7082 Depth=1
	s_and_not1_saveexec_b32 s91, s91
; %bb.12576:                            ;   in Loop: Header=BB0_7082 Depth=1
	s_delay_alu instid0(VALU_DEP_1)
	v_add_nc_u32_e32 v9, 0x20000000, v9
; %bb.12577:                            ;   in Loop: Header=BB0_7082 Depth=1
	s_or_b32 exec_lo, exec_lo, s91
.LBB0_12578:                            ;   in Loop: Header=BB0_7082 Depth=1
	s_and_not1_saveexec_b32 s90, s90
; %bb.12579:                            ;   in Loop: Header=BB0_7082 Depth=1
	s_delay_alu instid0(VALU_DEP_1)
	v_add_nc_u32_e32 v9, 0x24000000, v9
; %bb.12580:                            ;   in Loop: Header=BB0_7082 Depth=1
	s_or_b32 exec_lo, exec_lo, s90
.LBB0_12581:                            ;   in Loop: Header=BB0_7082 Depth=1
	s_and_not1_saveexec_b32 s89, s89
; %bb.12582:                            ;   in Loop: Header=BB0_7082 Depth=1
	s_delay_alu instid0(VALU_DEP_1)
	v_add_nc_u32_e32 v9, 0x28000000, v9
; %bb.12583:                            ;   in Loop: Header=BB0_7082 Depth=1
	s_or_b32 exec_lo, exec_lo, s89
.LBB0_12584:                            ;   in Loop: Header=BB0_7082 Depth=1
	s_and_not1_saveexec_b32 s88, s88
; %bb.12585:                            ;   in Loop: Header=BB0_7082 Depth=1
	s_delay_alu instid0(VALU_DEP_1)
	v_add_nc_u32_e32 v9, 0x2c000000, v9
; %bb.12586:                            ;   in Loop: Header=BB0_7082 Depth=1
	s_or_b32 exec_lo, exec_lo, s88
.LBB0_12587:                            ;   in Loop: Header=BB0_7082 Depth=1
	s_and_not1_saveexec_b32 s87, s87
; %bb.12588:                            ;   in Loop: Header=BB0_7082 Depth=1
	s_delay_alu instid0(VALU_DEP_1)
	v_add_nc_u32_e32 v9, 0x30000000, v9
; %bb.12589:                            ;   in Loop: Header=BB0_7082 Depth=1
	s_or_b32 exec_lo, exec_lo, s87
.LBB0_12590:                            ;   in Loop: Header=BB0_7082 Depth=1
	s_and_not1_saveexec_b32 s86, s86
; %bb.12591:                            ;   in Loop: Header=BB0_7082 Depth=1
	s_delay_alu instid0(VALU_DEP_1)
	v_add_nc_u32_e32 v9, 0x34000000, v9
; %bb.12592:                            ;   in Loop: Header=BB0_7082 Depth=1
	s_or_b32 exec_lo, exec_lo, s86
.LBB0_12593:                            ;   in Loop: Header=BB0_7082 Depth=1
	s_and_not1_saveexec_b32 s85, s85
; %bb.12594:                            ;   in Loop: Header=BB0_7082 Depth=1
	s_delay_alu instid0(VALU_DEP_1)
	v_add_nc_u32_e32 v9, 0x38000000, v9
; %bb.12595:                            ;   in Loop: Header=BB0_7082 Depth=1
	s_or_b32 exec_lo, exec_lo, s85
.LBB0_12596:                            ;   in Loop: Header=BB0_7082 Depth=1
	s_and_not1_saveexec_b32 s84, s84
; %bb.12597:                            ;   in Loop: Header=BB0_7082 Depth=1
	s_delay_alu instid0(VALU_DEP_1)
	v_add_nc_u32_e32 v9, 0x3c000000, v9
; %bb.12598:                            ;   in Loop: Header=BB0_7082 Depth=1
	s_or_b32 exec_lo, exec_lo, s84
.LBB0_12599:                            ;   in Loop: Header=BB0_7082 Depth=1
	s_and_not1_saveexec_b32 s83, s83
; %bb.12600:                            ;   in Loop: Header=BB0_7082 Depth=1
	s_delay_alu instid0(VALU_DEP_1)
	v_add_nc_u32_e32 v9, 2.0, v9
; %bb.12601:                            ;   in Loop: Header=BB0_7082 Depth=1
	s_or_b32 exec_lo, exec_lo, s83
.LBB0_12602:                            ;   in Loop: Header=BB0_7082 Depth=1
	s_and_not1_saveexec_b32 s82, s82
; %bb.12603:                            ;   in Loop: Header=BB0_7082 Depth=1
	s_delay_alu instid0(VALU_DEP_1)
	v_add_nc_u32_e32 v9, 0x44000000, v9
; %bb.12604:                            ;   in Loop: Header=BB0_7082 Depth=1
	s_or_b32 exec_lo, exec_lo, s82
.LBB0_12605:                            ;   in Loop: Header=BB0_7082 Depth=1
	s_and_not1_saveexec_b32 s81, s81
; %bb.12606:                            ;   in Loop: Header=BB0_7082 Depth=1
	s_delay_alu instid0(VALU_DEP_1)
	v_add_nc_u32_e32 v9, 0x48000000, v9
; %bb.12607:                            ;   in Loop: Header=BB0_7082 Depth=1
	s_or_b32 exec_lo, exec_lo, s81
.LBB0_12608:                            ;   in Loop: Header=BB0_7082 Depth=1
	s_and_not1_saveexec_b32 s80, s80
; %bb.12609:                            ;   in Loop: Header=BB0_7082 Depth=1
	s_delay_alu instid0(VALU_DEP_1)
	v_add_nc_u32_e32 v9, 0x4c000000, v9
; %bb.12610:                            ;   in Loop: Header=BB0_7082 Depth=1
	s_or_b32 exec_lo, exec_lo, s80
.LBB0_12611:                            ;   in Loop: Header=BB0_7082 Depth=1
	s_and_not1_saveexec_b32 s79, s79
; %bb.12612:                            ;   in Loop: Header=BB0_7082 Depth=1
	s_delay_alu instid0(VALU_DEP_1)
	v_add_nc_u32_e32 v9, 0x50000000, v9
; %bb.12613:                            ;   in Loop: Header=BB0_7082 Depth=1
	s_or_b32 exec_lo, exec_lo, s79
.LBB0_12614:                            ;   in Loop: Header=BB0_7082 Depth=1
	s_and_not1_saveexec_b32 s78, s78
; %bb.12615:                            ;   in Loop: Header=BB0_7082 Depth=1
	s_delay_alu instid0(VALU_DEP_1)
	v_add_nc_u32_e32 v9, 0x54000000, v9
; %bb.12616:                            ;   in Loop: Header=BB0_7082 Depth=1
	s_or_b32 exec_lo, exec_lo, s78
.LBB0_12617:                            ;   in Loop: Header=BB0_7082 Depth=1
	s_and_not1_saveexec_b32 s77, s77
; %bb.12618:                            ;   in Loop: Header=BB0_7082 Depth=1
	s_delay_alu instid0(VALU_DEP_1)
	v_add_nc_u32_e32 v9, 0x58000000, v9
; %bb.12619:                            ;   in Loop: Header=BB0_7082 Depth=1
	s_or_b32 exec_lo, exec_lo, s77
.LBB0_12620:                            ;   in Loop: Header=BB0_7082 Depth=1
	s_and_not1_saveexec_b32 s76, s76
; %bb.12621:                            ;   in Loop: Header=BB0_7082 Depth=1
	s_delay_alu instid0(VALU_DEP_1)
	v_add_nc_u32_e32 v9, 0x5c000000, v9
; %bb.12622:                            ;   in Loop: Header=BB0_7082 Depth=1
	s_or_b32 exec_lo, exec_lo, s76
.LBB0_12623:                            ;   in Loop: Header=BB0_7082 Depth=1
	s_and_not1_saveexec_b32 s75, s75
; %bb.12624:                            ;   in Loop: Header=BB0_7082 Depth=1
	s_delay_alu instid0(VALU_DEP_1)
	v_add_nc_u32_e32 v9, 0x60000000, v9
; %bb.12625:                            ;   in Loop: Header=BB0_7082 Depth=1
	s_or_b32 exec_lo, exec_lo, s75
.LBB0_12626:                            ;   in Loop: Header=BB0_7082 Depth=1
	s_and_not1_saveexec_b32 s74, s74
; %bb.12627:                            ;   in Loop: Header=BB0_7082 Depth=1
	s_delay_alu instid0(VALU_DEP_1)
	v_add_nc_u32_e32 v9, 0x64000000, v9
; %bb.12628:                            ;   in Loop: Header=BB0_7082 Depth=1
	s_or_b32 exec_lo, exec_lo, s74
.LBB0_12629:                            ;   in Loop: Header=BB0_7082 Depth=1
	s_and_not1_saveexec_b32 s73, s73
; %bb.12630:                            ;   in Loop: Header=BB0_7082 Depth=1
	s_delay_alu instid0(VALU_DEP_1)
	v_add_nc_u32_e32 v9, 0x68000000, v9
; %bb.12631:                            ;   in Loop: Header=BB0_7082 Depth=1
	s_or_b32 exec_lo, exec_lo, s73
.LBB0_12632:                            ;   in Loop: Header=BB0_7082 Depth=1
	s_and_not1_saveexec_b32 s72, s72
; %bb.12633:                            ;   in Loop: Header=BB0_7082 Depth=1
	s_delay_alu instid0(VALU_DEP_1)
	v_add_nc_u32_e32 v9, 0x6c000000, v9
; %bb.12634:                            ;   in Loop: Header=BB0_7082 Depth=1
	s_or_b32 exec_lo, exec_lo, s72
.LBB0_12635:                            ;   in Loop: Header=BB0_7082 Depth=1
	s_and_not1_saveexec_b32 s71, s71
; %bb.12636:                            ;   in Loop: Header=BB0_7082 Depth=1
	s_delay_alu instid0(VALU_DEP_1)
	v_add_nc_u32_e32 v9, 0x70000000, v9
; %bb.12637:                            ;   in Loop: Header=BB0_7082 Depth=1
	s_or_b32 exec_lo, exec_lo, s71
.LBB0_12638:                            ;   in Loop: Header=BB0_7082 Depth=1
	s_and_not1_saveexec_b32 s70, s70
; %bb.12639:                            ;   in Loop: Header=BB0_7082 Depth=1
	s_delay_alu instid0(VALU_DEP_1)
	v_add_nc_u32_e32 v9, 0x74000000, v9
; %bb.12640:                            ;   in Loop: Header=BB0_7082 Depth=1
	s_or_b32 exec_lo, exec_lo, s70
.LBB0_12641:                            ;   in Loop: Header=BB0_7082 Depth=1
	s_and_not1_saveexec_b32 s69, s69
; %bb.12642:                            ;   in Loop: Header=BB0_7082 Depth=1
	s_delay_alu instid0(VALU_DEP_1)
	v_add_nc_u32_e32 v9, 0x78000000, v9
; %bb.12643:                            ;   in Loop: Header=BB0_7082 Depth=1
	s_or_b32 exec_lo, exec_lo, s69
.LBB0_12644:                            ;   in Loop: Header=BB0_7082 Depth=1
	s_and_not1_saveexec_b32 s68, s68
; %bb.12645:                            ;   in Loop: Header=BB0_7082 Depth=1
	s_delay_alu instid0(VALU_DEP_1)
	v_add_nc_u32_e32 v9, 0x7c000000, v9
; %bb.12646:                            ;   in Loop: Header=BB0_7082 Depth=1
	s_or_b32 exec_lo, exec_lo, s68
	v_mov_b32_e32 v0, s62
	v_add3_u32 v11, v10, s63, 0x30000
	v_mov_b32_e32 v8, 0x7c
	s_mov_b32 s68, exec_lo
	ds_load_2addr_b64 v[12:15], v0 offset0:156 offset1:157
	ds_load_b64 v[16:17], v0 offset:1264
	global_store_b32 v11, v9, s[34:35] scale_offset
	s_wait_dscnt 0x1
	v_mul_f64_e32 v[0:1], v[4:5], v[14:15]
	s_delay_alu instid0(VALU_DEP_1) | instskip(SKIP_1) | instid1(VALU_DEP_1)
	v_fmac_f64_e32 v[0:1], v[2:3], v[12:13]
	s_wait_dscnt 0x0
	v_fmac_f64_e32 v[0:1], v[6:7], v[16:17]
	s_wait_xcnt 0x0
	s_delay_alu instid0(VALU_DEP_1)
	v_cmpx_ngt_f64_e32 s[60:61], v[0:1]
	s_cbranch_execz .LBB0_12708
; %bb.12647:                            ;   in Loop: Header=BB0_7082 Depth=1
	v_mov_b32_e32 v8, 0x78
	s_mov_b32 s69, exec_lo
	v_cmpx_ngt_f64_e32 s[66:67], v[0:1]
	s_cbranch_execz .LBB0_12707
; %bb.12648:                            ;   in Loop: Header=BB0_7082 Depth=1
	v_mov_b32_e32 v8, 0x74
	s_mov_b32 s70, exec_lo
	;; [unrolled: 5-line block ×30, first 2 shown]
	v_cmpx_gt_f64_e32 s[36:37], v[0:1]
; %bb.12677:                            ;   in Loop: Header=BB0_7082 Depth=1
	v_mov_b32_e32 v8, 4
; %bb.12678:                            ;   in Loop: Header=BB0_7082 Depth=1
	s_or_b32 exec_lo, exec_lo, s98
.LBB0_12679:                            ;   in Loop: Header=BB0_7082 Depth=1
	s_delay_alu instid0(SALU_CYCLE_1)
	s_or_b32 exec_lo, exec_lo, s97
.LBB0_12680:                            ;   in Loop: Header=BB0_7082 Depth=1
	s_delay_alu instid0(SALU_CYCLE_1)
	s_or_b32 exec_lo, exec_lo, s96
.LBB0_12681:                            ;   in Loop: Header=BB0_7082 Depth=1
	s_delay_alu instid0(SALU_CYCLE_1)
	s_or_b32 exec_lo, exec_lo, s95
.LBB0_12682:                            ;   in Loop: Header=BB0_7082 Depth=1
	s_delay_alu instid0(SALU_CYCLE_1)
	s_or_b32 exec_lo, exec_lo, s94
.LBB0_12683:                            ;   in Loop: Header=BB0_7082 Depth=1
	s_delay_alu instid0(SALU_CYCLE_1)
	s_or_b32 exec_lo, exec_lo, s93
.LBB0_12684:                            ;   in Loop: Header=BB0_7082 Depth=1
	s_delay_alu instid0(SALU_CYCLE_1)
	s_or_b32 exec_lo, exec_lo, s92
.LBB0_12685:                            ;   in Loop: Header=BB0_7082 Depth=1
	s_delay_alu instid0(SALU_CYCLE_1)
	s_or_b32 exec_lo, exec_lo, s91
.LBB0_12686:                            ;   in Loop: Header=BB0_7082 Depth=1
	s_delay_alu instid0(SALU_CYCLE_1)
	s_or_b32 exec_lo, exec_lo, s90
.LBB0_12687:                            ;   in Loop: Header=BB0_7082 Depth=1
	s_delay_alu instid0(SALU_CYCLE_1)
	s_or_b32 exec_lo, exec_lo, s89
.LBB0_12688:                            ;   in Loop: Header=BB0_7082 Depth=1
	s_delay_alu instid0(SALU_CYCLE_1)
	s_or_b32 exec_lo, exec_lo, s88
.LBB0_12689:                            ;   in Loop: Header=BB0_7082 Depth=1
	s_delay_alu instid0(SALU_CYCLE_1)
	s_or_b32 exec_lo, exec_lo, s87
.LBB0_12690:                            ;   in Loop: Header=BB0_7082 Depth=1
	s_delay_alu instid0(SALU_CYCLE_1)
	s_or_b32 exec_lo, exec_lo, s86
.LBB0_12691:                            ;   in Loop: Header=BB0_7082 Depth=1
	s_delay_alu instid0(SALU_CYCLE_1)
	s_or_b32 exec_lo, exec_lo, s85
.LBB0_12692:                            ;   in Loop: Header=BB0_7082 Depth=1
	s_delay_alu instid0(SALU_CYCLE_1)
	s_or_b32 exec_lo, exec_lo, s84
.LBB0_12693:                            ;   in Loop: Header=BB0_7082 Depth=1
	s_delay_alu instid0(SALU_CYCLE_1)
	s_or_b32 exec_lo, exec_lo, s83
.LBB0_12694:                            ;   in Loop: Header=BB0_7082 Depth=1
	s_delay_alu instid0(SALU_CYCLE_1)
	s_or_b32 exec_lo, exec_lo, s82
.LBB0_12695:                            ;   in Loop: Header=BB0_7082 Depth=1
	s_delay_alu instid0(SALU_CYCLE_1)
	s_or_b32 exec_lo, exec_lo, s81
.LBB0_12696:                            ;   in Loop: Header=BB0_7082 Depth=1
	s_delay_alu instid0(SALU_CYCLE_1)
	s_or_b32 exec_lo, exec_lo, s80
.LBB0_12697:                            ;   in Loop: Header=BB0_7082 Depth=1
	s_delay_alu instid0(SALU_CYCLE_1)
	s_or_b32 exec_lo, exec_lo, s79
.LBB0_12698:                            ;   in Loop: Header=BB0_7082 Depth=1
	s_delay_alu instid0(SALU_CYCLE_1)
	s_or_b32 exec_lo, exec_lo, s78
.LBB0_12699:                            ;   in Loop: Header=BB0_7082 Depth=1
	s_delay_alu instid0(SALU_CYCLE_1)
	s_or_b32 exec_lo, exec_lo, s77
.LBB0_12700:                            ;   in Loop: Header=BB0_7082 Depth=1
	s_delay_alu instid0(SALU_CYCLE_1)
	s_or_b32 exec_lo, exec_lo, s76
.LBB0_12701:                            ;   in Loop: Header=BB0_7082 Depth=1
	s_delay_alu instid0(SALU_CYCLE_1)
	s_or_b32 exec_lo, exec_lo, s75
.LBB0_12702:                            ;   in Loop: Header=BB0_7082 Depth=1
	s_delay_alu instid0(SALU_CYCLE_1)
	s_or_b32 exec_lo, exec_lo, s74
.LBB0_12703:                            ;   in Loop: Header=BB0_7082 Depth=1
	s_delay_alu instid0(SALU_CYCLE_1)
	s_or_b32 exec_lo, exec_lo, s73
.LBB0_12704:                            ;   in Loop: Header=BB0_7082 Depth=1
	s_delay_alu instid0(SALU_CYCLE_1)
	s_or_b32 exec_lo, exec_lo, s72
.LBB0_12705:                            ;   in Loop: Header=BB0_7082 Depth=1
	s_delay_alu instid0(SALU_CYCLE_1)
	s_or_b32 exec_lo, exec_lo, s71
.LBB0_12706:                            ;   in Loop: Header=BB0_7082 Depth=1
	s_delay_alu instid0(SALU_CYCLE_1)
	s_or_b32 exec_lo, exec_lo, s70
.LBB0_12707:                            ;   in Loop: Header=BB0_7082 Depth=1
	s_delay_alu instid0(SALU_CYCLE_1)
	s_or_b32 exec_lo, exec_lo, s69
.LBB0_12708:                            ;   in Loop: Header=BB0_7082 Depth=1
	s_delay_alu instid0(SALU_CYCLE_1)
	s_or_b32 exec_lo, exec_lo, s68
	v_mov_b32_e32 v0, s62
	s_mov_b32 s68, exec_lo
	ds_load_2addr_b64 v[12:15], v0 offset0:159 offset1:160
	ds_load_b64 v[16:17], v0 offset:1288
	s_wait_dscnt 0x1
	v_mul_f64_e32 v[0:1], v[4:5], v[14:15]
	s_delay_alu instid0(VALU_DEP_1) | instskip(SKIP_1) | instid1(VALU_DEP_1)
	v_fmac_f64_e32 v[0:1], v[2:3], v[12:13]
	s_wait_dscnt 0x0
	v_fmac_f64_e32 v[0:1], v[6:7], v[16:17]
	s_delay_alu instid0(VALU_DEP_1)
	v_cmpx_ngt_f64_e32 s[60:61], v[0:1]
	s_xor_b32 s68, exec_lo, s68
	s_cbranch_execz .LBB0_12828
; %bb.12709:                            ;   in Loop: Header=BB0_7082 Depth=1
	s_mov_b32 s69, exec_lo
	v_cmpx_ngt_f64_e32 s[66:67], v[0:1]
	s_xor_b32 s69, exec_lo, s69
	s_cbranch_execz .LBB0_12825
; %bb.12710:                            ;   in Loop: Header=BB0_7082 Depth=1
	s_mov_b32 s70, exec_lo
	;; [unrolled: 5-line block ×30, first 2 shown]
	v_cmpx_gt_f64_e32 s[36:37], v[0:1]
; %bb.12739:                            ;   in Loop: Header=BB0_7082 Depth=1
	v_or_b32_e32 v8, 0x400, v8
; %bb.12740:                            ;   in Loop: Header=BB0_7082 Depth=1
	s_or_b32 exec_lo, exec_lo, s98
.LBB0_12741:                            ;   in Loop: Header=BB0_7082 Depth=1
	s_and_not1_saveexec_b32 s97, s97
; %bb.12742:                            ;   in Loop: Header=BB0_7082 Depth=1
	s_delay_alu instid0(VALU_DEP_1)
	v_or_b32_e32 v8, 0x800, v8
; %bb.12743:                            ;   in Loop: Header=BB0_7082 Depth=1
	s_or_b32 exec_lo, exec_lo, s97
.LBB0_12744:                            ;   in Loop: Header=BB0_7082 Depth=1
	s_and_not1_saveexec_b32 s96, s96
; %bb.12745:                            ;   in Loop: Header=BB0_7082 Depth=1
	s_delay_alu instid0(VALU_DEP_1)
	v_or_b32_e32 v8, 0xc00, v8
; %bb.12746:                            ;   in Loop: Header=BB0_7082 Depth=1
	s_or_b32 exec_lo, exec_lo, s96
.LBB0_12747:                            ;   in Loop: Header=BB0_7082 Depth=1
	s_and_not1_saveexec_b32 s95, s95
; %bb.12748:                            ;   in Loop: Header=BB0_7082 Depth=1
	s_delay_alu instid0(VALU_DEP_1)
	v_or_b32_e32 v8, 0x1000, v8
; %bb.12749:                            ;   in Loop: Header=BB0_7082 Depth=1
	s_or_b32 exec_lo, exec_lo, s95
.LBB0_12750:                            ;   in Loop: Header=BB0_7082 Depth=1
	s_and_not1_saveexec_b32 s94, s94
; %bb.12751:                            ;   in Loop: Header=BB0_7082 Depth=1
	s_delay_alu instid0(VALU_DEP_1)
	v_or_b32_e32 v8, 0x1400, v8
; %bb.12752:                            ;   in Loop: Header=BB0_7082 Depth=1
	s_or_b32 exec_lo, exec_lo, s94
.LBB0_12753:                            ;   in Loop: Header=BB0_7082 Depth=1
	s_and_not1_saveexec_b32 s93, s93
; %bb.12754:                            ;   in Loop: Header=BB0_7082 Depth=1
	s_delay_alu instid0(VALU_DEP_1)
	v_or_b32_e32 v8, 0x1800, v8
; %bb.12755:                            ;   in Loop: Header=BB0_7082 Depth=1
	s_or_b32 exec_lo, exec_lo, s93
.LBB0_12756:                            ;   in Loop: Header=BB0_7082 Depth=1
	s_and_not1_saveexec_b32 s92, s92
; %bb.12757:                            ;   in Loop: Header=BB0_7082 Depth=1
	s_delay_alu instid0(VALU_DEP_1)
	v_or_b32_e32 v8, 0x1c00, v8
; %bb.12758:                            ;   in Loop: Header=BB0_7082 Depth=1
	s_or_b32 exec_lo, exec_lo, s92
.LBB0_12759:                            ;   in Loop: Header=BB0_7082 Depth=1
	s_and_not1_saveexec_b32 s91, s91
; %bb.12760:                            ;   in Loop: Header=BB0_7082 Depth=1
	s_delay_alu instid0(VALU_DEP_1)
	v_or_b32_e32 v8, 0x2000, v8
; %bb.12761:                            ;   in Loop: Header=BB0_7082 Depth=1
	s_or_b32 exec_lo, exec_lo, s91
.LBB0_12762:                            ;   in Loop: Header=BB0_7082 Depth=1
	s_and_not1_saveexec_b32 s90, s90
; %bb.12763:                            ;   in Loop: Header=BB0_7082 Depth=1
	s_delay_alu instid0(VALU_DEP_1)
	v_or_b32_e32 v8, 0x2400, v8
; %bb.12764:                            ;   in Loop: Header=BB0_7082 Depth=1
	s_or_b32 exec_lo, exec_lo, s90
.LBB0_12765:                            ;   in Loop: Header=BB0_7082 Depth=1
	s_and_not1_saveexec_b32 s89, s89
; %bb.12766:                            ;   in Loop: Header=BB0_7082 Depth=1
	s_delay_alu instid0(VALU_DEP_1)
	v_or_b32_e32 v8, 0x2800, v8
; %bb.12767:                            ;   in Loop: Header=BB0_7082 Depth=1
	s_or_b32 exec_lo, exec_lo, s89
.LBB0_12768:                            ;   in Loop: Header=BB0_7082 Depth=1
	s_and_not1_saveexec_b32 s88, s88
; %bb.12769:                            ;   in Loop: Header=BB0_7082 Depth=1
	s_delay_alu instid0(VALU_DEP_1)
	v_or_b32_e32 v8, 0x2c00, v8
; %bb.12770:                            ;   in Loop: Header=BB0_7082 Depth=1
	s_or_b32 exec_lo, exec_lo, s88
.LBB0_12771:                            ;   in Loop: Header=BB0_7082 Depth=1
	s_and_not1_saveexec_b32 s87, s87
; %bb.12772:                            ;   in Loop: Header=BB0_7082 Depth=1
	s_delay_alu instid0(VALU_DEP_1)
	v_or_b32_e32 v8, 0x3000, v8
; %bb.12773:                            ;   in Loop: Header=BB0_7082 Depth=1
	s_or_b32 exec_lo, exec_lo, s87
.LBB0_12774:                            ;   in Loop: Header=BB0_7082 Depth=1
	s_and_not1_saveexec_b32 s86, s86
; %bb.12775:                            ;   in Loop: Header=BB0_7082 Depth=1
	s_delay_alu instid0(VALU_DEP_1)
	v_or_b32_e32 v8, 0x3400, v8
; %bb.12776:                            ;   in Loop: Header=BB0_7082 Depth=1
	s_or_b32 exec_lo, exec_lo, s86
.LBB0_12777:                            ;   in Loop: Header=BB0_7082 Depth=1
	s_and_not1_saveexec_b32 s85, s85
; %bb.12778:                            ;   in Loop: Header=BB0_7082 Depth=1
	s_delay_alu instid0(VALU_DEP_1)
	v_or_b32_e32 v8, 0x3800, v8
; %bb.12779:                            ;   in Loop: Header=BB0_7082 Depth=1
	s_or_b32 exec_lo, exec_lo, s85
.LBB0_12780:                            ;   in Loop: Header=BB0_7082 Depth=1
	s_and_not1_saveexec_b32 s84, s84
; %bb.12781:                            ;   in Loop: Header=BB0_7082 Depth=1
	s_delay_alu instid0(VALU_DEP_1)
	v_or_b32_e32 v8, 0x3c00, v8
; %bb.12782:                            ;   in Loop: Header=BB0_7082 Depth=1
	s_or_b32 exec_lo, exec_lo, s84
.LBB0_12783:                            ;   in Loop: Header=BB0_7082 Depth=1
	s_and_not1_saveexec_b32 s83, s83
; %bb.12784:                            ;   in Loop: Header=BB0_7082 Depth=1
	s_delay_alu instid0(VALU_DEP_1)
	v_or_b32_e32 v8, 0x4000, v8
; %bb.12785:                            ;   in Loop: Header=BB0_7082 Depth=1
	s_or_b32 exec_lo, exec_lo, s83
.LBB0_12786:                            ;   in Loop: Header=BB0_7082 Depth=1
	s_and_not1_saveexec_b32 s82, s82
; %bb.12787:                            ;   in Loop: Header=BB0_7082 Depth=1
	s_delay_alu instid0(VALU_DEP_1)
	v_or_b32_e32 v8, 0x4400, v8
; %bb.12788:                            ;   in Loop: Header=BB0_7082 Depth=1
	s_or_b32 exec_lo, exec_lo, s82
.LBB0_12789:                            ;   in Loop: Header=BB0_7082 Depth=1
	s_and_not1_saveexec_b32 s81, s81
; %bb.12790:                            ;   in Loop: Header=BB0_7082 Depth=1
	s_delay_alu instid0(VALU_DEP_1)
	v_or_b32_e32 v8, 0x4800, v8
; %bb.12791:                            ;   in Loop: Header=BB0_7082 Depth=1
	s_or_b32 exec_lo, exec_lo, s81
.LBB0_12792:                            ;   in Loop: Header=BB0_7082 Depth=1
	s_and_not1_saveexec_b32 s80, s80
; %bb.12793:                            ;   in Loop: Header=BB0_7082 Depth=1
	s_delay_alu instid0(VALU_DEP_1)
	v_or_b32_e32 v8, 0x4c00, v8
; %bb.12794:                            ;   in Loop: Header=BB0_7082 Depth=1
	s_or_b32 exec_lo, exec_lo, s80
.LBB0_12795:                            ;   in Loop: Header=BB0_7082 Depth=1
	s_and_not1_saveexec_b32 s79, s79
; %bb.12796:                            ;   in Loop: Header=BB0_7082 Depth=1
	s_delay_alu instid0(VALU_DEP_1)
	v_or_b32_e32 v8, 0x5000, v8
; %bb.12797:                            ;   in Loop: Header=BB0_7082 Depth=1
	s_or_b32 exec_lo, exec_lo, s79
.LBB0_12798:                            ;   in Loop: Header=BB0_7082 Depth=1
	s_and_not1_saveexec_b32 s78, s78
; %bb.12799:                            ;   in Loop: Header=BB0_7082 Depth=1
	s_delay_alu instid0(VALU_DEP_1)
	v_or_b32_e32 v8, 0x5400, v8
; %bb.12800:                            ;   in Loop: Header=BB0_7082 Depth=1
	s_or_b32 exec_lo, exec_lo, s78
.LBB0_12801:                            ;   in Loop: Header=BB0_7082 Depth=1
	s_and_not1_saveexec_b32 s77, s77
; %bb.12802:                            ;   in Loop: Header=BB0_7082 Depth=1
	s_delay_alu instid0(VALU_DEP_1)
	v_or_b32_e32 v8, 0x5800, v8
; %bb.12803:                            ;   in Loop: Header=BB0_7082 Depth=1
	s_or_b32 exec_lo, exec_lo, s77
.LBB0_12804:                            ;   in Loop: Header=BB0_7082 Depth=1
	s_and_not1_saveexec_b32 s76, s76
; %bb.12805:                            ;   in Loop: Header=BB0_7082 Depth=1
	s_delay_alu instid0(VALU_DEP_1)
	v_or_b32_e32 v8, 0x5c00, v8
; %bb.12806:                            ;   in Loop: Header=BB0_7082 Depth=1
	s_or_b32 exec_lo, exec_lo, s76
.LBB0_12807:                            ;   in Loop: Header=BB0_7082 Depth=1
	s_and_not1_saveexec_b32 s75, s75
; %bb.12808:                            ;   in Loop: Header=BB0_7082 Depth=1
	s_delay_alu instid0(VALU_DEP_1)
	v_or_b32_e32 v8, 0x6000, v8
; %bb.12809:                            ;   in Loop: Header=BB0_7082 Depth=1
	s_or_b32 exec_lo, exec_lo, s75
.LBB0_12810:                            ;   in Loop: Header=BB0_7082 Depth=1
	s_and_not1_saveexec_b32 s74, s74
; %bb.12811:                            ;   in Loop: Header=BB0_7082 Depth=1
	s_delay_alu instid0(VALU_DEP_1)
	v_or_b32_e32 v8, 0x6400, v8
; %bb.12812:                            ;   in Loop: Header=BB0_7082 Depth=1
	s_or_b32 exec_lo, exec_lo, s74
.LBB0_12813:                            ;   in Loop: Header=BB0_7082 Depth=1
	s_and_not1_saveexec_b32 s73, s73
; %bb.12814:                            ;   in Loop: Header=BB0_7082 Depth=1
	s_delay_alu instid0(VALU_DEP_1)
	v_or_b32_e32 v8, 0x6800, v8
; %bb.12815:                            ;   in Loop: Header=BB0_7082 Depth=1
	s_or_b32 exec_lo, exec_lo, s73
.LBB0_12816:                            ;   in Loop: Header=BB0_7082 Depth=1
	s_and_not1_saveexec_b32 s72, s72
; %bb.12817:                            ;   in Loop: Header=BB0_7082 Depth=1
	s_delay_alu instid0(VALU_DEP_1)
	v_or_b32_e32 v8, 0x6c00, v8
; %bb.12818:                            ;   in Loop: Header=BB0_7082 Depth=1
	s_or_b32 exec_lo, exec_lo, s72
.LBB0_12819:                            ;   in Loop: Header=BB0_7082 Depth=1
	s_and_not1_saveexec_b32 s71, s71
; %bb.12820:                            ;   in Loop: Header=BB0_7082 Depth=1
	s_delay_alu instid0(VALU_DEP_1)
	v_or_b32_e32 v8, 0x7000, v8
; %bb.12821:                            ;   in Loop: Header=BB0_7082 Depth=1
	s_or_b32 exec_lo, exec_lo, s71
.LBB0_12822:                            ;   in Loop: Header=BB0_7082 Depth=1
	s_and_not1_saveexec_b32 s70, s70
; %bb.12823:                            ;   in Loop: Header=BB0_7082 Depth=1
	s_delay_alu instid0(VALU_DEP_1)
	v_or_b32_e32 v8, 0x7400, v8
; %bb.12824:                            ;   in Loop: Header=BB0_7082 Depth=1
	s_or_b32 exec_lo, exec_lo, s70
.LBB0_12825:                            ;   in Loop: Header=BB0_7082 Depth=1
	s_and_not1_saveexec_b32 s69, s69
; %bb.12826:                            ;   in Loop: Header=BB0_7082 Depth=1
	s_delay_alu instid0(VALU_DEP_1)
	v_or_b32_e32 v8, 0x7800, v8
; %bb.12827:                            ;   in Loop: Header=BB0_7082 Depth=1
	s_or_b32 exec_lo, exec_lo, s69
.LBB0_12828:                            ;   in Loop: Header=BB0_7082 Depth=1
	s_and_not1_saveexec_b32 s68, s68
; %bb.12829:                            ;   in Loop: Header=BB0_7082 Depth=1
	s_delay_alu instid0(VALU_DEP_1)
	v_or_b32_e32 v8, 0x7c00, v8
; %bb.12830:                            ;   in Loop: Header=BB0_7082 Depth=1
	s_or_b32 exec_lo, exec_lo, s68
	v_mov_b32_e32 v0, s62
	s_mov_b32 s68, exec_lo
	ds_load_2addr_b64 v[12:15], v0 offset0:162 offset1:163
	ds_load_b64 v[16:17], v0 offset:1312
	s_wait_dscnt 0x1
	v_mul_f64_e32 v[0:1], v[4:5], v[14:15]
	s_delay_alu instid0(VALU_DEP_1) | instskip(SKIP_1) | instid1(VALU_DEP_1)
	v_fmac_f64_e32 v[0:1], v[2:3], v[12:13]
	s_wait_dscnt 0x0
	v_fmac_f64_e32 v[0:1], v[6:7], v[16:17]
	s_delay_alu instid0(VALU_DEP_1)
	v_cmpx_ngt_f64_e32 s[60:61], v[0:1]
	s_xor_b32 s68, exec_lo, s68
	s_cbranch_execz .LBB0_12950
; %bb.12831:                            ;   in Loop: Header=BB0_7082 Depth=1
	s_mov_b32 s69, exec_lo
	v_cmpx_ngt_f64_e32 s[66:67], v[0:1]
	s_xor_b32 s69, exec_lo, s69
	s_cbranch_execz .LBB0_12947
; %bb.12832:                            ;   in Loop: Header=BB0_7082 Depth=1
	s_mov_b32 s70, exec_lo
	;; [unrolled: 5-line block ×30, first 2 shown]
	v_cmpx_gt_f64_e32 s[36:37], v[0:1]
; %bb.12861:                            ;   in Loop: Header=BB0_7082 Depth=1
	v_add_nc_u32_e32 v8, 0x40000, v8
; %bb.12862:                            ;   in Loop: Header=BB0_7082 Depth=1
	s_or_b32 exec_lo, exec_lo, s98
.LBB0_12863:                            ;   in Loop: Header=BB0_7082 Depth=1
	s_and_not1_saveexec_b32 s97, s97
; %bb.12864:                            ;   in Loop: Header=BB0_7082 Depth=1
	s_delay_alu instid0(VALU_DEP_1)
	v_add_nc_u32_e32 v8, 0x80000, v8
; %bb.12865:                            ;   in Loop: Header=BB0_7082 Depth=1
	s_or_b32 exec_lo, exec_lo, s97
.LBB0_12866:                            ;   in Loop: Header=BB0_7082 Depth=1
	s_and_not1_saveexec_b32 s96, s96
; %bb.12867:                            ;   in Loop: Header=BB0_7082 Depth=1
	s_delay_alu instid0(VALU_DEP_1)
	v_add_nc_u32_e32 v8, 0xc0000, v8
; %bb.12868:                            ;   in Loop: Header=BB0_7082 Depth=1
	s_or_b32 exec_lo, exec_lo, s96
.LBB0_12869:                            ;   in Loop: Header=BB0_7082 Depth=1
	s_and_not1_saveexec_b32 s95, s95
; %bb.12870:                            ;   in Loop: Header=BB0_7082 Depth=1
	s_delay_alu instid0(VALU_DEP_1)
	v_add_nc_u32_e32 v8, 0x100000, v8
; %bb.12871:                            ;   in Loop: Header=BB0_7082 Depth=1
	s_or_b32 exec_lo, exec_lo, s95
.LBB0_12872:                            ;   in Loop: Header=BB0_7082 Depth=1
	s_and_not1_saveexec_b32 s94, s94
; %bb.12873:                            ;   in Loop: Header=BB0_7082 Depth=1
	s_delay_alu instid0(VALU_DEP_1)
	v_add_nc_u32_e32 v8, 0x140000, v8
; %bb.12874:                            ;   in Loop: Header=BB0_7082 Depth=1
	s_or_b32 exec_lo, exec_lo, s94
.LBB0_12875:                            ;   in Loop: Header=BB0_7082 Depth=1
	s_and_not1_saveexec_b32 s93, s93
; %bb.12876:                            ;   in Loop: Header=BB0_7082 Depth=1
	s_delay_alu instid0(VALU_DEP_1)
	v_add_nc_u32_e32 v8, 0x180000, v8
; %bb.12877:                            ;   in Loop: Header=BB0_7082 Depth=1
	s_or_b32 exec_lo, exec_lo, s93
.LBB0_12878:                            ;   in Loop: Header=BB0_7082 Depth=1
	s_and_not1_saveexec_b32 s92, s92
; %bb.12879:                            ;   in Loop: Header=BB0_7082 Depth=1
	s_delay_alu instid0(VALU_DEP_1)
	v_add_nc_u32_e32 v8, 0x1c0000, v8
; %bb.12880:                            ;   in Loop: Header=BB0_7082 Depth=1
	s_or_b32 exec_lo, exec_lo, s92
.LBB0_12881:                            ;   in Loop: Header=BB0_7082 Depth=1
	s_and_not1_saveexec_b32 s91, s91
; %bb.12882:                            ;   in Loop: Header=BB0_7082 Depth=1
	s_delay_alu instid0(VALU_DEP_1)
	v_add_nc_u32_e32 v8, 0x200000, v8
; %bb.12883:                            ;   in Loop: Header=BB0_7082 Depth=1
	s_or_b32 exec_lo, exec_lo, s91
.LBB0_12884:                            ;   in Loop: Header=BB0_7082 Depth=1
	s_and_not1_saveexec_b32 s90, s90
; %bb.12885:                            ;   in Loop: Header=BB0_7082 Depth=1
	s_delay_alu instid0(VALU_DEP_1)
	v_add_nc_u32_e32 v8, 0x240000, v8
; %bb.12886:                            ;   in Loop: Header=BB0_7082 Depth=1
	s_or_b32 exec_lo, exec_lo, s90
.LBB0_12887:                            ;   in Loop: Header=BB0_7082 Depth=1
	s_and_not1_saveexec_b32 s89, s89
; %bb.12888:                            ;   in Loop: Header=BB0_7082 Depth=1
	s_delay_alu instid0(VALU_DEP_1)
	v_add_nc_u32_e32 v8, 0x280000, v8
; %bb.12889:                            ;   in Loop: Header=BB0_7082 Depth=1
	s_or_b32 exec_lo, exec_lo, s89
.LBB0_12890:                            ;   in Loop: Header=BB0_7082 Depth=1
	s_and_not1_saveexec_b32 s88, s88
; %bb.12891:                            ;   in Loop: Header=BB0_7082 Depth=1
	s_delay_alu instid0(VALU_DEP_1)
	v_add_nc_u32_e32 v8, 0x2c0000, v8
; %bb.12892:                            ;   in Loop: Header=BB0_7082 Depth=1
	s_or_b32 exec_lo, exec_lo, s88
.LBB0_12893:                            ;   in Loop: Header=BB0_7082 Depth=1
	s_and_not1_saveexec_b32 s87, s87
; %bb.12894:                            ;   in Loop: Header=BB0_7082 Depth=1
	s_delay_alu instid0(VALU_DEP_1)
	v_add_nc_u32_e32 v8, 0x300000, v8
; %bb.12895:                            ;   in Loop: Header=BB0_7082 Depth=1
	s_or_b32 exec_lo, exec_lo, s87
.LBB0_12896:                            ;   in Loop: Header=BB0_7082 Depth=1
	s_and_not1_saveexec_b32 s86, s86
; %bb.12897:                            ;   in Loop: Header=BB0_7082 Depth=1
	s_delay_alu instid0(VALU_DEP_1)
	v_add_nc_u32_e32 v8, 0x340000, v8
; %bb.12898:                            ;   in Loop: Header=BB0_7082 Depth=1
	s_or_b32 exec_lo, exec_lo, s86
.LBB0_12899:                            ;   in Loop: Header=BB0_7082 Depth=1
	s_and_not1_saveexec_b32 s85, s85
; %bb.12900:                            ;   in Loop: Header=BB0_7082 Depth=1
	s_delay_alu instid0(VALU_DEP_1)
	v_add_nc_u32_e32 v8, 0x380000, v8
; %bb.12901:                            ;   in Loop: Header=BB0_7082 Depth=1
	s_or_b32 exec_lo, exec_lo, s85
.LBB0_12902:                            ;   in Loop: Header=BB0_7082 Depth=1
	s_and_not1_saveexec_b32 s84, s84
; %bb.12903:                            ;   in Loop: Header=BB0_7082 Depth=1
	s_delay_alu instid0(VALU_DEP_1)
	v_add_nc_u32_e32 v8, 0x3c0000, v8
; %bb.12904:                            ;   in Loop: Header=BB0_7082 Depth=1
	s_or_b32 exec_lo, exec_lo, s84
.LBB0_12905:                            ;   in Loop: Header=BB0_7082 Depth=1
	s_and_not1_saveexec_b32 s83, s83
; %bb.12906:                            ;   in Loop: Header=BB0_7082 Depth=1
	s_delay_alu instid0(VALU_DEP_1)
	v_add_nc_u32_e32 v8, 0x400000, v8
; %bb.12907:                            ;   in Loop: Header=BB0_7082 Depth=1
	s_or_b32 exec_lo, exec_lo, s83
.LBB0_12908:                            ;   in Loop: Header=BB0_7082 Depth=1
	s_and_not1_saveexec_b32 s82, s82
; %bb.12909:                            ;   in Loop: Header=BB0_7082 Depth=1
	s_delay_alu instid0(VALU_DEP_1)
	v_add_nc_u32_e32 v8, 0x440000, v8
; %bb.12910:                            ;   in Loop: Header=BB0_7082 Depth=1
	s_or_b32 exec_lo, exec_lo, s82
.LBB0_12911:                            ;   in Loop: Header=BB0_7082 Depth=1
	s_and_not1_saveexec_b32 s81, s81
; %bb.12912:                            ;   in Loop: Header=BB0_7082 Depth=1
	s_delay_alu instid0(VALU_DEP_1)
	v_add_nc_u32_e32 v8, 0x480000, v8
; %bb.12913:                            ;   in Loop: Header=BB0_7082 Depth=1
	s_or_b32 exec_lo, exec_lo, s81
.LBB0_12914:                            ;   in Loop: Header=BB0_7082 Depth=1
	s_and_not1_saveexec_b32 s80, s80
; %bb.12915:                            ;   in Loop: Header=BB0_7082 Depth=1
	s_delay_alu instid0(VALU_DEP_1)
	v_add_nc_u32_e32 v8, 0x4c0000, v8
; %bb.12916:                            ;   in Loop: Header=BB0_7082 Depth=1
	s_or_b32 exec_lo, exec_lo, s80
.LBB0_12917:                            ;   in Loop: Header=BB0_7082 Depth=1
	s_and_not1_saveexec_b32 s79, s79
; %bb.12918:                            ;   in Loop: Header=BB0_7082 Depth=1
	s_delay_alu instid0(VALU_DEP_1)
	v_add_nc_u32_e32 v8, 0x500000, v8
; %bb.12919:                            ;   in Loop: Header=BB0_7082 Depth=1
	s_or_b32 exec_lo, exec_lo, s79
.LBB0_12920:                            ;   in Loop: Header=BB0_7082 Depth=1
	s_and_not1_saveexec_b32 s78, s78
; %bb.12921:                            ;   in Loop: Header=BB0_7082 Depth=1
	s_delay_alu instid0(VALU_DEP_1)
	v_add_nc_u32_e32 v8, 0x540000, v8
; %bb.12922:                            ;   in Loop: Header=BB0_7082 Depth=1
	s_or_b32 exec_lo, exec_lo, s78
.LBB0_12923:                            ;   in Loop: Header=BB0_7082 Depth=1
	s_and_not1_saveexec_b32 s77, s77
; %bb.12924:                            ;   in Loop: Header=BB0_7082 Depth=1
	s_delay_alu instid0(VALU_DEP_1)
	v_add_nc_u32_e32 v8, 0x580000, v8
; %bb.12925:                            ;   in Loop: Header=BB0_7082 Depth=1
	s_or_b32 exec_lo, exec_lo, s77
.LBB0_12926:                            ;   in Loop: Header=BB0_7082 Depth=1
	s_and_not1_saveexec_b32 s76, s76
; %bb.12927:                            ;   in Loop: Header=BB0_7082 Depth=1
	s_delay_alu instid0(VALU_DEP_1)
	v_add_nc_u32_e32 v8, 0x5c0000, v8
; %bb.12928:                            ;   in Loop: Header=BB0_7082 Depth=1
	s_or_b32 exec_lo, exec_lo, s76
.LBB0_12929:                            ;   in Loop: Header=BB0_7082 Depth=1
	s_and_not1_saveexec_b32 s75, s75
; %bb.12930:                            ;   in Loop: Header=BB0_7082 Depth=1
	s_delay_alu instid0(VALU_DEP_1)
	v_add_nc_u32_e32 v8, 0x600000, v8
; %bb.12931:                            ;   in Loop: Header=BB0_7082 Depth=1
	s_or_b32 exec_lo, exec_lo, s75
.LBB0_12932:                            ;   in Loop: Header=BB0_7082 Depth=1
	s_and_not1_saveexec_b32 s74, s74
; %bb.12933:                            ;   in Loop: Header=BB0_7082 Depth=1
	s_delay_alu instid0(VALU_DEP_1)
	v_add_nc_u32_e32 v8, 0x640000, v8
; %bb.12934:                            ;   in Loop: Header=BB0_7082 Depth=1
	s_or_b32 exec_lo, exec_lo, s74
.LBB0_12935:                            ;   in Loop: Header=BB0_7082 Depth=1
	s_and_not1_saveexec_b32 s73, s73
; %bb.12936:                            ;   in Loop: Header=BB0_7082 Depth=1
	s_delay_alu instid0(VALU_DEP_1)
	v_add_nc_u32_e32 v8, 0x680000, v8
; %bb.12937:                            ;   in Loop: Header=BB0_7082 Depth=1
	s_or_b32 exec_lo, exec_lo, s73
.LBB0_12938:                            ;   in Loop: Header=BB0_7082 Depth=1
	s_and_not1_saveexec_b32 s72, s72
; %bb.12939:                            ;   in Loop: Header=BB0_7082 Depth=1
	s_delay_alu instid0(VALU_DEP_1)
	v_add_nc_u32_e32 v8, 0x6c0000, v8
; %bb.12940:                            ;   in Loop: Header=BB0_7082 Depth=1
	s_or_b32 exec_lo, exec_lo, s72
.LBB0_12941:                            ;   in Loop: Header=BB0_7082 Depth=1
	s_and_not1_saveexec_b32 s71, s71
; %bb.12942:                            ;   in Loop: Header=BB0_7082 Depth=1
	s_delay_alu instid0(VALU_DEP_1)
	v_add_nc_u32_e32 v8, 0x700000, v8
; %bb.12943:                            ;   in Loop: Header=BB0_7082 Depth=1
	s_or_b32 exec_lo, exec_lo, s71
.LBB0_12944:                            ;   in Loop: Header=BB0_7082 Depth=1
	s_and_not1_saveexec_b32 s70, s70
; %bb.12945:                            ;   in Loop: Header=BB0_7082 Depth=1
	s_delay_alu instid0(VALU_DEP_1)
	v_add_nc_u32_e32 v8, 0x740000, v8
; %bb.12946:                            ;   in Loop: Header=BB0_7082 Depth=1
	s_or_b32 exec_lo, exec_lo, s70
.LBB0_12947:                            ;   in Loop: Header=BB0_7082 Depth=1
	s_and_not1_saveexec_b32 s69, s69
; %bb.12948:                            ;   in Loop: Header=BB0_7082 Depth=1
	s_delay_alu instid0(VALU_DEP_1)
	v_add_nc_u32_e32 v8, 0x780000, v8
; %bb.12949:                            ;   in Loop: Header=BB0_7082 Depth=1
	s_or_b32 exec_lo, exec_lo, s69
.LBB0_12950:                            ;   in Loop: Header=BB0_7082 Depth=1
	s_and_not1_saveexec_b32 s68, s68
; %bb.12951:                            ;   in Loop: Header=BB0_7082 Depth=1
	s_delay_alu instid0(VALU_DEP_1)
	v_add_nc_u32_e32 v8, 0x7c0000, v8
; %bb.12952:                            ;   in Loop: Header=BB0_7082 Depth=1
	s_or_b32 exec_lo, exec_lo, s68
	v_mov_b32_e32 v0, s62
	s_mov_b32 s68, exec_lo
	ds_load_2addr_b64 v[12:15], v0 offset0:165 offset1:166
	ds_load_b64 v[16:17], v0 offset:1336
	s_wait_dscnt 0x1
	v_mul_f64_e32 v[0:1], v[4:5], v[14:15]
	s_delay_alu instid0(VALU_DEP_1) | instskip(SKIP_1) | instid1(VALU_DEP_1)
	v_fmac_f64_e32 v[0:1], v[2:3], v[12:13]
	s_wait_dscnt 0x0
	v_fmac_f64_e32 v[0:1], v[6:7], v[16:17]
	s_delay_alu instid0(VALU_DEP_1)
	v_cmpx_ngt_f64_e32 s[60:61], v[0:1]
	s_xor_b32 s68, exec_lo, s68
	s_cbranch_execz .LBB0_13072
; %bb.12953:                            ;   in Loop: Header=BB0_7082 Depth=1
	s_mov_b32 s69, exec_lo
	v_cmpx_ngt_f64_e32 s[66:67], v[0:1]
	s_xor_b32 s69, exec_lo, s69
	s_cbranch_execz .LBB0_13069
; %bb.12954:                            ;   in Loop: Header=BB0_7082 Depth=1
	s_mov_b32 s70, exec_lo
	;; [unrolled: 5-line block ×30, first 2 shown]
	v_cmpx_gt_f64_e32 s[36:37], v[0:1]
; %bb.12983:                            ;   in Loop: Header=BB0_7082 Depth=1
	v_add_nc_u32_e32 v8, 0x4000000, v8
; %bb.12984:                            ;   in Loop: Header=BB0_7082 Depth=1
	s_or_b32 exec_lo, exec_lo, s98
.LBB0_12985:                            ;   in Loop: Header=BB0_7082 Depth=1
	s_and_not1_saveexec_b32 s97, s97
; %bb.12986:                            ;   in Loop: Header=BB0_7082 Depth=1
	s_delay_alu instid0(VALU_DEP_1)
	v_add_nc_u32_e32 v8, 0x8000000, v8
; %bb.12987:                            ;   in Loop: Header=BB0_7082 Depth=1
	s_or_b32 exec_lo, exec_lo, s97
.LBB0_12988:                            ;   in Loop: Header=BB0_7082 Depth=1
	s_and_not1_saveexec_b32 s96, s96
; %bb.12989:                            ;   in Loop: Header=BB0_7082 Depth=1
	s_delay_alu instid0(VALU_DEP_1)
	v_add_nc_u32_e32 v8, 0xc000000, v8
; %bb.12990:                            ;   in Loop: Header=BB0_7082 Depth=1
	s_or_b32 exec_lo, exec_lo, s96
.LBB0_12991:                            ;   in Loop: Header=BB0_7082 Depth=1
	s_and_not1_saveexec_b32 s95, s95
; %bb.12992:                            ;   in Loop: Header=BB0_7082 Depth=1
	s_delay_alu instid0(VALU_DEP_1)
	v_add_nc_u32_e32 v8, 0x10000000, v8
; %bb.12993:                            ;   in Loop: Header=BB0_7082 Depth=1
	s_or_b32 exec_lo, exec_lo, s95
.LBB0_12994:                            ;   in Loop: Header=BB0_7082 Depth=1
	s_and_not1_saveexec_b32 s94, s94
; %bb.12995:                            ;   in Loop: Header=BB0_7082 Depth=1
	s_delay_alu instid0(VALU_DEP_1)
	v_add_nc_u32_e32 v8, 0x14000000, v8
; %bb.12996:                            ;   in Loop: Header=BB0_7082 Depth=1
	s_or_b32 exec_lo, exec_lo, s94
.LBB0_12997:                            ;   in Loop: Header=BB0_7082 Depth=1
	s_and_not1_saveexec_b32 s93, s93
; %bb.12998:                            ;   in Loop: Header=BB0_7082 Depth=1
	s_delay_alu instid0(VALU_DEP_1)
	v_add_nc_u32_e32 v8, 0x18000000, v8
; %bb.12999:                            ;   in Loop: Header=BB0_7082 Depth=1
	s_or_b32 exec_lo, exec_lo, s93
.LBB0_13000:                            ;   in Loop: Header=BB0_7082 Depth=1
	s_and_not1_saveexec_b32 s92, s92
; %bb.13001:                            ;   in Loop: Header=BB0_7082 Depth=1
	s_delay_alu instid0(VALU_DEP_1)
	v_add_nc_u32_e32 v8, 0x1c000000, v8
; %bb.13002:                            ;   in Loop: Header=BB0_7082 Depth=1
	s_or_b32 exec_lo, exec_lo, s92
.LBB0_13003:                            ;   in Loop: Header=BB0_7082 Depth=1
	s_and_not1_saveexec_b32 s91, s91
; %bb.13004:                            ;   in Loop: Header=BB0_7082 Depth=1
	s_delay_alu instid0(VALU_DEP_1)
	v_add_nc_u32_e32 v8, 0x20000000, v8
; %bb.13005:                            ;   in Loop: Header=BB0_7082 Depth=1
	s_or_b32 exec_lo, exec_lo, s91
.LBB0_13006:                            ;   in Loop: Header=BB0_7082 Depth=1
	s_and_not1_saveexec_b32 s90, s90
; %bb.13007:                            ;   in Loop: Header=BB0_7082 Depth=1
	s_delay_alu instid0(VALU_DEP_1)
	v_add_nc_u32_e32 v8, 0x24000000, v8
; %bb.13008:                            ;   in Loop: Header=BB0_7082 Depth=1
	s_or_b32 exec_lo, exec_lo, s90
.LBB0_13009:                            ;   in Loop: Header=BB0_7082 Depth=1
	s_and_not1_saveexec_b32 s89, s89
; %bb.13010:                            ;   in Loop: Header=BB0_7082 Depth=1
	s_delay_alu instid0(VALU_DEP_1)
	v_add_nc_u32_e32 v8, 0x28000000, v8
; %bb.13011:                            ;   in Loop: Header=BB0_7082 Depth=1
	s_or_b32 exec_lo, exec_lo, s89
.LBB0_13012:                            ;   in Loop: Header=BB0_7082 Depth=1
	s_and_not1_saveexec_b32 s88, s88
; %bb.13013:                            ;   in Loop: Header=BB0_7082 Depth=1
	s_delay_alu instid0(VALU_DEP_1)
	v_add_nc_u32_e32 v8, 0x2c000000, v8
; %bb.13014:                            ;   in Loop: Header=BB0_7082 Depth=1
	s_or_b32 exec_lo, exec_lo, s88
.LBB0_13015:                            ;   in Loop: Header=BB0_7082 Depth=1
	s_and_not1_saveexec_b32 s87, s87
; %bb.13016:                            ;   in Loop: Header=BB0_7082 Depth=1
	s_delay_alu instid0(VALU_DEP_1)
	v_add_nc_u32_e32 v8, 0x30000000, v8
; %bb.13017:                            ;   in Loop: Header=BB0_7082 Depth=1
	s_or_b32 exec_lo, exec_lo, s87
.LBB0_13018:                            ;   in Loop: Header=BB0_7082 Depth=1
	s_and_not1_saveexec_b32 s86, s86
; %bb.13019:                            ;   in Loop: Header=BB0_7082 Depth=1
	s_delay_alu instid0(VALU_DEP_1)
	v_add_nc_u32_e32 v8, 0x34000000, v8
; %bb.13020:                            ;   in Loop: Header=BB0_7082 Depth=1
	s_or_b32 exec_lo, exec_lo, s86
.LBB0_13021:                            ;   in Loop: Header=BB0_7082 Depth=1
	s_and_not1_saveexec_b32 s85, s85
; %bb.13022:                            ;   in Loop: Header=BB0_7082 Depth=1
	s_delay_alu instid0(VALU_DEP_1)
	v_add_nc_u32_e32 v8, 0x38000000, v8
; %bb.13023:                            ;   in Loop: Header=BB0_7082 Depth=1
	s_or_b32 exec_lo, exec_lo, s85
.LBB0_13024:                            ;   in Loop: Header=BB0_7082 Depth=1
	s_and_not1_saveexec_b32 s84, s84
; %bb.13025:                            ;   in Loop: Header=BB0_7082 Depth=1
	s_delay_alu instid0(VALU_DEP_1)
	v_add_nc_u32_e32 v8, 0x3c000000, v8
; %bb.13026:                            ;   in Loop: Header=BB0_7082 Depth=1
	s_or_b32 exec_lo, exec_lo, s84
.LBB0_13027:                            ;   in Loop: Header=BB0_7082 Depth=1
	s_and_not1_saveexec_b32 s83, s83
; %bb.13028:                            ;   in Loop: Header=BB0_7082 Depth=1
	s_delay_alu instid0(VALU_DEP_1)
	v_add_nc_u32_e32 v8, 2.0, v8
; %bb.13029:                            ;   in Loop: Header=BB0_7082 Depth=1
	s_or_b32 exec_lo, exec_lo, s83
.LBB0_13030:                            ;   in Loop: Header=BB0_7082 Depth=1
	s_and_not1_saveexec_b32 s82, s82
; %bb.13031:                            ;   in Loop: Header=BB0_7082 Depth=1
	s_delay_alu instid0(VALU_DEP_1)
	v_add_nc_u32_e32 v8, 0x44000000, v8
; %bb.13032:                            ;   in Loop: Header=BB0_7082 Depth=1
	s_or_b32 exec_lo, exec_lo, s82
.LBB0_13033:                            ;   in Loop: Header=BB0_7082 Depth=1
	s_and_not1_saveexec_b32 s81, s81
; %bb.13034:                            ;   in Loop: Header=BB0_7082 Depth=1
	s_delay_alu instid0(VALU_DEP_1)
	v_add_nc_u32_e32 v8, 0x48000000, v8
; %bb.13035:                            ;   in Loop: Header=BB0_7082 Depth=1
	s_or_b32 exec_lo, exec_lo, s81
.LBB0_13036:                            ;   in Loop: Header=BB0_7082 Depth=1
	s_and_not1_saveexec_b32 s80, s80
; %bb.13037:                            ;   in Loop: Header=BB0_7082 Depth=1
	s_delay_alu instid0(VALU_DEP_1)
	v_add_nc_u32_e32 v8, 0x4c000000, v8
; %bb.13038:                            ;   in Loop: Header=BB0_7082 Depth=1
	s_or_b32 exec_lo, exec_lo, s80
.LBB0_13039:                            ;   in Loop: Header=BB0_7082 Depth=1
	s_and_not1_saveexec_b32 s79, s79
; %bb.13040:                            ;   in Loop: Header=BB0_7082 Depth=1
	s_delay_alu instid0(VALU_DEP_1)
	v_add_nc_u32_e32 v8, 0x50000000, v8
; %bb.13041:                            ;   in Loop: Header=BB0_7082 Depth=1
	s_or_b32 exec_lo, exec_lo, s79
.LBB0_13042:                            ;   in Loop: Header=BB0_7082 Depth=1
	s_and_not1_saveexec_b32 s78, s78
; %bb.13043:                            ;   in Loop: Header=BB0_7082 Depth=1
	s_delay_alu instid0(VALU_DEP_1)
	v_add_nc_u32_e32 v8, 0x54000000, v8
; %bb.13044:                            ;   in Loop: Header=BB0_7082 Depth=1
	s_or_b32 exec_lo, exec_lo, s78
.LBB0_13045:                            ;   in Loop: Header=BB0_7082 Depth=1
	s_and_not1_saveexec_b32 s77, s77
; %bb.13046:                            ;   in Loop: Header=BB0_7082 Depth=1
	s_delay_alu instid0(VALU_DEP_1)
	v_add_nc_u32_e32 v8, 0x58000000, v8
; %bb.13047:                            ;   in Loop: Header=BB0_7082 Depth=1
	s_or_b32 exec_lo, exec_lo, s77
.LBB0_13048:                            ;   in Loop: Header=BB0_7082 Depth=1
	s_and_not1_saveexec_b32 s76, s76
; %bb.13049:                            ;   in Loop: Header=BB0_7082 Depth=1
	s_delay_alu instid0(VALU_DEP_1)
	v_add_nc_u32_e32 v8, 0x5c000000, v8
; %bb.13050:                            ;   in Loop: Header=BB0_7082 Depth=1
	s_or_b32 exec_lo, exec_lo, s76
.LBB0_13051:                            ;   in Loop: Header=BB0_7082 Depth=1
	s_and_not1_saveexec_b32 s75, s75
; %bb.13052:                            ;   in Loop: Header=BB0_7082 Depth=1
	s_delay_alu instid0(VALU_DEP_1)
	v_add_nc_u32_e32 v8, 0x60000000, v8
; %bb.13053:                            ;   in Loop: Header=BB0_7082 Depth=1
	s_or_b32 exec_lo, exec_lo, s75
.LBB0_13054:                            ;   in Loop: Header=BB0_7082 Depth=1
	s_and_not1_saveexec_b32 s74, s74
; %bb.13055:                            ;   in Loop: Header=BB0_7082 Depth=1
	s_delay_alu instid0(VALU_DEP_1)
	v_add_nc_u32_e32 v8, 0x64000000, v8
; %bb.13056:                            ;   in Loop: Header=BB0_7082 Depth=1
	s_or_b32 exec_lo, exec_lo, s74
.LBB0_13057:                            ;   in Loop: Header=BB0_7082 Depth=1
	s_and_not1_saveexec_b32 s73, s73
; %bb.13058:                            ;   in Loop: Header=BB0_7082 Depth=1
	s_delay_alu instid0(VALU_DEP_1)
	v_add_nc_u32_e32 v8, 0x68000000, v8
; %bb.13059:                            ;   in Loop: Header=BB0_7082 Depth=1
	s_or_b32 exec_lo, exec_lo, s73
.LBB0_13060:                            ;   in Loop: Header=BB0_7082 Depth=1
	s_and_not1_saveexec_b32 s72, s72
; %bb.13061:                            ;   in Loop: Header=BB0_7082 Depth=1
	s_delay_alu instid0(VALU_DEP_1)
	v_add_nc_u32_e32 v8, 0x6c000000, v8
; %bb.13062:                            ;   in Loop: Header=BB0_7082 Depth=1
	s_or_b32 exec_lo, exec_lo, s72
.LBB0_13063:                            ;   in Loop: Header=BB0_7082 Depth=1
	s_and_not1_saveexec_b32 s71, s71
; %bb.13064:                            ;   in Loop: Header=BB0_7082 Depth=1
	s_delay_alu instid0(VALU_DEP_1)
	v_add_nc_u32_e32 v8, 0x70000000, v8
; %bb.13065:                            ;   in Loop: Header=BB0_7082 Depth=1
	s_or_b32 exec_lo, exec_lo, s71
.LBB0_13066:                            ;   in Loop: Header=BB0_7082 Depth=1
	s_and_not1_saveexec_b32 s70, s70
; %bb.13067:                            ;   in Loop: Header=BB0_7082 Depth=1
	s_delay_alu instid0(VALU_DEP_1)
	v_add_nc_u32_e32 v8, 0x74000000, v8
; %bb.13068:                            ;   in Loop: Header=BB0_7082 Depth=1
	s_or_b32 exec_lo, exec_lo, s70
.LBB0_13069:                            ;   in Loop: Header=BB0_7082 Depth=1
	s_and_not1_saveexec_b32 s69, s69
; %bb.13070:                            ;   in Loop: Header=BB0_7082 Depth=1
	s_delay_alu instid0(VALU_DEP_1)
	v_add_nc_u32_e32 v8, 0x78000000, v8
; %bb.13071:                            ;   in Loop: Header=BB0_7082 Depth=1
	s_or_b32 exec_lo, exec_lo, s69
.LBB0_13072:                            ;   in Loop: Header=BB0_7082 Depth=1
	s_and_not1_saveexec_b32 s68, s68
; %bb.13073:                            ;   in Loop: Header=BB0_7082 Depth=1
	s_delay_alu instid0(VALU_DEP_1)
	v_add_nc_u32_e32 v8, 0x7c000000, v8
; %bb.13074:                            ;   in Loop: Header=BB0_7082 Depth=1
	s_or_b32 exec_lo, exec_lo, s68
	v_dual_mov_b32 v0, s62 :: v_dual_mov_b32 v9, 0x7c
	v_add3_u32 v11, v10, s63, 0x34000
	s_mov_b32 s68, exec_lo
	ds_load_2addr_b64 v[12:15], v0 offset0:168 offset1:169
	ds_load_b64 v[16:17], v0 offset:1360
	global_store_b32 v11, v8, s[34:35] scale_offset
	s_wait_dscnt 0x1
	v_mul_f64_e32 v[0:1], v[4:5], v[14:15]
	s_delay_alu instid0(VALU_DEP_1) | instskip(SKIP_1) | instid1(VALU_DEP_1)
	v_fmac_f64_e32 v[0:1], v[2:3], v[12:13]
	s_wait_dscnt 0x0
	v_fmac_f64_e32 v[0:1], v[6:7], v[16:17]
	s_wait_xcnt 0x0
	s_delay_alu instid0(VALU_DEP_1)
	v_cmpx_ngt_f64_e32 s[60:61], v[0:1]
	s_cbranch_execz .LBB0_13136
; %bb.13075:                            ;   in Loop: Header=BB0_7082 Depth=1
	v_mov_b32_e32 v9, 0x78
	s_mov_b32 s69, exec_lo
	v_cmpx_ngt_f64_e32 s[66:67], v[0:1]
	s_cbranch_execz .LBB0_13135
; %bb.13076:                            ;   in Loop: Header=BB0_7082 Depth=1
	v_mov_b32_e32 v9, 0x74
	s_mov_b32 s70, exec_lo
	;; [unrolled: 5-line block ×30, first 2 shown]
	v_cmpx_gt_f64_e32 s[36:37], v[0:1]
; %bb.13105:                            ;   in Loop: Header=BB0_7082 Depth=1
	v_mov_b32_e32 v9, 4
; %bb.13106:                            ;   in Loop: Header=BB0_7082 Depth=1
	s_or_b32 exec_lo, exec_lo, s98
.LBB0_13107:                            ;   in Loop: Header=BB0_7082 Depth=1
	s_delay_alu instid0(SALU_CYCLE_1)
	s_or_b32 exec_lo, exec_lo, s97
.LBB0_13108:                            ;   in Loop: Header=BB0_7082 Depth=1
	s_delay_alu instid0(SALU_CYCLE_1)
	s_or_b32 exec_lo, exec_lo, s96
.LBB0_13109:                            ;   in Loop: Header=BB0_7082 Depth=1
	s_delay_alu instid0(SALU_CYCLE_1)
	s_or_b32 exec_lo, exec_lo, s95
.LBB0_13110:                            ;   in Loop: Header=BB0_7082 Depth=1
	s_delay_alu instid0(SALU_CYCLE_1)
	s_or_b32 exec_lo, exec_lo, s94
.LBB0_13111:                            ;   in Loop: Header=BB0_7082 Depth=1
	s_delay_alu instid0(SALU_CYCLE_1)
	s_or_b32 exec_lo, exec_lo, s93
.LBB0_13112:                            ;   in Loop: Header=BB0_7082 Depth=1
	s_delay_alu instid0(SALU_CYCLE_1)
	s_or_b32 exec_lo, exec_lo, s92
.LBB0_13113:                            ;   in Loop: Header=BB0_7082 Depth=1
	s_delay_alu instid0(SALU_CYCLE_1)
	s_or_b32 exec_lo, exec_lo, s91
.LBB0_13114:                            ;   in Loop: Header=BB0_7082 Depth=1
	s_delay_alu instid0(SALU_CYCLE_1)
	s_or_b32 exec_lo, exec_lo, s90
.LBB0_13115:                            ;   in Loop: Header=BB0_7082 Depth=1
	s_delay_alu instid0(SALU_CYCLE_1)
	s_or_b32 exec_lo, exec_lo, s89
.LBB0_13116:                            ;   in Loop: Header=BB0_7082 Depth=1
	s_delay_alu instid0(SALU_CYCLE_1)
	s_or_b32 exec_lo, exec_lo, s88
.LBB0_13117:                            ;   in Loop: Header=BB0_7082 Depth=1
	s_delay_alu instid0(SALU_CYCLE_1)
	s_or_b32 exec_lo, exec_lo, s87
.LBB0_13118:                            ;   in Loop: Header=BB0_7082 Depth=1
	s_delay_alu instid0(SALU_CYCLE_1)
	s_or_b32 exec_lo, exec_lo, s86
.LBB0_13119:                            ;   in Loop: Header=BB0_7082 Depth=1
	s_delay_alu instid0(SALU_CYCLE_1)
	s_or_b32 exec_lo, exec_lo, s85
.LBB0_13120:                            ;   in Loop: Header=BB0_7082 Depth=1
	s_delay_alu instid0(SALU_CYCLE_1)
	s_or_b32 exec_lo, exec_lo, s84
.LBB0_13121:                            ;   in Loop: Header=BB0_7082 Depth=1
	s_delay_alu instid0(SALU_CYCLE_1)
	s_or_b32 exec_lo, exec_lo, s83
.LBB0_13122:                            ;   in Loop: Header=BB0_7082 Depth=1
	s_delay_alu instid0(SALU_CYCLE_1)
	s_or_b32 exec_lo, exec_lo, s82
.LBB0_13123:                            ;   in Loop: Header=BB0_7082 Depth=1
	s_delay_alu instid0(SALU_CYCLE_1)
	s_or_b32 exec_lo, exec_lo, s81
.LBB0_13124:                            ;   in Loop: Header=BB0_7082 Depth=1
	s_delay_alu instid0(SALU_CYCLE_1)
	s_or_b32 exec_lo, exec_lo, s80
.LBB0_13125:                            ;   in Loop: Header=BB0_7082 Depth=1
	s_delay_alu instid0(SALU_CYCLE_1)
	s_or_b32 exec_lo, exec_lo, s79
.LBB0_13126:                            ;   in Loop: Header=BB0_7082 Depth=1
	s_delay_alu instid0(SALU_CYCLE_1)
	s_or_b32 exec_lo, exec_lo, s78
.LBB0_13127:                            ;   in Loop: Header=BB0_7082 Depth=1
	s_delay_alu instid0(SALU_CYCLE_1)
	s_or_b32 exec_lo, exec_lo, s77
.LBB0_13128:                            ;   in Loop: Header=BB0_7082 Depth=1
	s_delay_alu instid0(SALU_CYCLE_1)
	s_or_b32 exec_lo, exec_lo, s76
.LBB0_13129:                            ;   in Loop: Header=BB0_7082 Depth=1
	s_delay_alu instid0(SALU_CYCLE_1)
	s_or_b32 exec_lo, exec_lo, s75
.LBB0_13130:                            ;   in Loop: Header=BB0_7082 Depth=1
	s_delay_alu instid0(SALU_CYCLE_1)
	s_or_b32 exec_lo, exec_lo, s74
.LBB0_13131:                            ;   in Loop: Header=BB0_7082 Depth=1
	s_delay_alu instid0(SALU_CYCLE_1)
	s_or_b32 exec_lo, exec_lo, s73
.LBB0_13132:                            ;   in Loop: Header=BB0_7082 Depth=1
	s_delay_alu instid0(SALU_CYCLE_1)
	s_or_b32 exec_lo, exec_lo, s72
.LBB0_13133:                            ;   in Loop: Header=BB0_7082 Depth=1
	s_delay_alu instid0(SALU_CYCLE_1)
	s_or_b32 exec_lo, exec_lo, s71
.LBB0_13134:                            ;   in Loop: Header=BB0_7082 Depth=1
	s_delay_alu instid0(SALU_CYCLE_1)
	s_or_b32 exec_lo, exec_lo, s70
.LBB0_13135:                            ;   in Loop: Header=BB0_7082 Depth=1
	s_delay_alu instid0(SALU_CYCLE_1)
	s_or_b32 exec_lo, exec_lo, s69
.LBB0_13136:                            ;   in Loop: Header=BB0_7082 Depth=1
	s_delay_alu instid0(SALU_CYCLE_1)
	s_or_b32 exec_lo, exec_lo, s68
	v_mov_b32_e32 v0, s62
	s_mov_b32 s68, exec_lo
	ds_load_2addr_b64 v[12:15], v0 offset0:171 offset1:172
	ds_load_b64 v[16:17], v0 offset:1384
	s_wait_dscnt 0x1
	v_mul_f64_e32 v[0:1], v[4:5], v[14:15]
	s_delay_alu instid0(VALU_DEP_1) | instskip(SKIP_1) | instid1(VALU_DEP_1)
	v_fmac_f64_e32 v[0:1], v[2:3], v[12:13]
	s_wait_dscnt 0x0
	v_fmac_f64_e32 v[0:1], v[6:7], v[16:17]
	s_delay_alu instid0(VALU_DEP_1)
	v_cmpx_ngt_f64_e32 s[60:61], v[0:1]
	s_xor_b32 s68, exec_lo, s68
	s_cbranch_execz .LBB0_13256
; %bb.13137:                            ;   in Loop: Header=BB0_7082 Depth=1
	s_mov_b32 s69, exec_lo
	v_cmpx_ngt_f64_e32 s[66:67], v[0:1]
	s_xor_b32 s69, exec_lo, s69
	s_cbranch_execz .LBB0_13253
; %bb.13138:                            ;   in Loop: Header=BB0_7082 Depth=1
	s_mov_b32 s70, exec_lo
	;; [unrolled: 5-line block ×30, first 2 shown]
	v_cmpx_gt_f64_e32 s[36:37], v[0:1]
; %bb.13167:                            ;   in Loop: Header=BB0_7082 Depth=1
	v_or_b32_e32 v9, 0x400, v9
; %bb.13168:                            ;   in Loop: Header=BB0_7082 Depth=1
	s_or_b32 exec_lo, exec_lo, s98
.LBB0_13169:                            ;   in Loop: Header=BB0_7082 Depth=1
	s_and_not1_saveexec_b32 s97, s97
; %bb.13170:                            ;   in Loop: Header=BB0_7082 Depth=1
	s_delay_alu instid0(VALU_DEP_1)
	v_or_b32_e32 v9, 0x800, v9
; %bb.13171:                            ;   in Loop: Header=BB0_7082 Depth=1
	s_or_b32 exec_lo, exec_lo, s97
.LBB0_13172:                            ;   in Loop: Header=BB0_7082 Depth=1
	s_and_not1_saveexec_b32 s96, s96
; %bb.13173:                            ;   in Loop: Header=BB0_7082 Depth=1
	s_delay_alu instid0(VALU_DEP_1)
	v_or_b32_e32 v9, 0xc00, v9
; %bb.13174:                            ;   in Loop: Header=BB0_7082 Depth=1
	s_or_b32 exec_lo, exec_lo, s96
.LBB0_13175:                            ;   in Loop: Header=BB0_7082 Depth=1
	s_and_not1_saveexec_b32 s95, s95
; %bb.13176:                            ;   in Loop: Header=BB0_7082 Depth=1
	s_delay_alu instid0(VALU_DEP_1)
	v_or_b32_e32 v9, 0x1000, v9
; %bb.13177:                            ;   in Loop: Header=BB0_7082 Depth=1
	s_or_b32 exec_lo, exec_lo, s95
.LBB0_13178:                            ;   in Loop: Header=BB0_7082 Depth=1
	s_and_not1_saveexec_b32 s94, s94
; %bb.13179:                            ;   in Loop: Header=BB0_7082 Depth=1
	s_delay_alu instid0(VALU_DEP_1)
	v_or_b32_e32 v9, 0x1400, v9
; %bb.13180:                            ;   in Loop: Header=BB0_7082 Depth=1
	s_or_b32 exec_lo, exec_lo, s94
.LBB0_13181:                            ;   in Loop: Header=BB0_7082 Depth=1
	s_and_not1_saveexec_b32 s93, s93
; %bb.13182:                            ;   in Loop: Header=BB0_7082 Depth=1
	s_delay_alu instid0(VALU_DEP_1)
	v_or_b32_e32 v9, 0x1800, v9
; %bb.13183:                            ;   in Loop: Header=BB0_7082 Depth=1
	s_or_b32 exec_lo, exec_lo, s93
.LBB0_13184:                            ;   in Loop: Header=BB0_7082 Depth=1
	s_and_not1_saveexec_b32 s92, s92
; %bb.13185:                            ;   in Loop: Header=BB0_7082 Depth=1
	s_delay_alu instid0(VALU_DEP_1)
	v_or_b32_e32 v9, 0x1c00, v9
; %bb.13186:                            ;   in Loop: Header=BB0_7082 Depth=1
	s_or_b32 exec_lo, exec_lo, s92
.LBB0_13187:                            ;   in Loop: Header=BB0_7082 Depth=1
	s_and_not1_saveexec_b32 s91, s91
; %bb.13188:                            ;   in Loop: Header=BB0_7082 Depth=1
	s_delay_alu instid0(VALU_DEP_1)
	v_or_b32_e32 v9, 0x2000, v9
; %bb.13189:                            ;   in Loop: Header=BB0_7082 Depth=1
	s_or_b32 exec_lo, exec_lo, s91
.LBB0_13190:                            ;   in Loop: Header=BB0_7082 Depth=1
	s_and_not1_saveexec_b32 s90, s90
; %bb.13191:                            ;   in Loop: Header=BB0_7082 Depth=1
	s_delay_alu instid0(VALU_DEP_1)
	v_or_b32_e32 v9, 0x2400, v9
; %bb.13192:                            ;   in Loop: Header=BB0_7082 Depth=1
	s_or_b32 exec_lo, exec_lo, s90
.LBB0_13193:                            ;   in Loop: Header=BB0_7082 Depth=1
	s_and_not1_saveexec_b32 s89, s89
; %bb.13194:                            ;   in Loop: Header=BB0_7082 Depth=1
	s_delay_alu instid0(VALU_DEP_1)
	v_or_b32_e32 v9, 0x2800, v9
; %bb.13195:                            ;   in Loop: Header=BB0_7082 Depth=1
	s_or_b32 exec_lo, exec_lo, s89
.LBB0_13196:                            ;   in Loop: Header=BB0_7082 Depth=1
	s_and_not1_saveexec_b32 s88, s88
; %bb.13197:                            ;   in Loop: Header=BB0_7082 Depth=1
	s_delay_alu instid0(VALU_DEP_1)
	v_or_b32_e32 v9, 0x2c00, v9
; %bb.13198:                            ;   in Loop: Header=BB0_7082 Depth=1
	s_or_b32 exec_lo, exec_lo, s88
.LBB0_13199:                            ;   in Loop: Header=BB0_7082 Depth=1
	s_and_not1_saveexec_b32 s87, s87
; %bb.13200:                            ;   in Loop: Header=BB0_7082 Depth=1
	s_delay_alu instid0(VALU_DEP_1)
	v_or_b32_e32 v9, 0x3000, v9
; %bb.13201:                            ;   in Loop: Header=BB0_7082 Depth=1
	s_or_b32 exec_lo, exec_lo, s87
.LBB0_13202:                            ;   in Loop: Header=BB0_7082 Depth=1
	s_and_not1_saveexec_b32 s86, s86
; %bb.13203:                            ;   in Loop: Header=BB0_7082 Depth=1
	s_delay_alu instid0(VALU_DEP_1)
	v_or_b32_e32 v9, 0x3400, v9
; %bb.13204:                            ;   in Loop: Header=BB0_7082 Depth=1
	s_or_b32 exec_lo, exec_lo, s86
.LBB0_13205:                            ;   in Loop: Header=BB0_7082 Depth=1
	s_and_not1_saveexec_b32 s85, s85
; %bb.13206:                            ;   in Loop: Header=BB0_7082 Depth=1
	s_delay_alu instid0(VALU_DEP_1)
	v_or_b32_e32 v9, 0x3800, v9
; %bb.13207:                            ;   in Loop: Header=BB0_7082 Depth=1
	s_or_b32 exec_lo, exec_lo, s85
.LBB0_13208:                            ;   in Loop: Header=BB0_7082 Depth=1
	s_and_not1_saveexec_b32 s84, s84
; %bb.13209:                            ;   in Loop: Header=BB0_7082 Depth=1
	s_delay_alu instid0(VALU_DEP_1)
	v_or_b32_e32 v9, 0x3c00, v9
; %bb.13210:                            ;   in Loop: Header=BB0_7082 Depth=1
	s_or_b32 exec_lo, exec_lo, s84
.LBB0_13211:                            ;   in Loop: Header=BB0_7082 Depth=1
	s_and_not1_saveexec_b32 s83, s83
; %bb.13212:                            ;   in Loop: Header=BB0_7082 Depth=1
	s_delay_alu instid0(VALU_DEP_1)
	v_or_b32_e32 v9, 0x4000, v9
; %bb.13213:                            ;   in Loop: Header=BB0_7082 Depth=1
	s_or_b32 exec_lo, exec_lo, s83
.LBB0_13214:                            ;   in Loop: Header=BB0_7082 Depth=1
	s_and_not1_saveexec_b32 s82, s82
; %bb.13215:                            ;   in Loop: Header=BB0_7082 Depth=1
	s_delay_alu instid0(VALU_DEP_1)
	v_or_b32_e32 v9, 0x4400, v9
; %bb.13216:                            ;   in Loop: Header=BB0_7082 Depth=1
	s_or_b32 exec_lo, exec_lo, s82
.LBB0_13217:                            ;   in Loop: Header=BB0_7082 Depth=1
	s_and_not1_saveexec_b32 s81, s81
; %bb.13218:                            ;   in Loop: Header=BB0_7082 Depth=1
	s_delay_alu instid0(VALU_DEP_1)
	v_or_b32_e32 v9, 0x4800, v9
; %bb.13219:                            ;   in Loop: Header=BB0_7082 Depth=1
	s_or_b32 exec_lo, exec_lo, s81
.LBB0_13220:                            ;   in Loop: Header=BB0_7082 Depth=1
	s_and_not1_saveexec_b32 s80, s80
; %bb.13221:                            ;   in Loop: Header=BB0_7082 Depth=1
	s_delay_alu instid0(VALU_DEP_1)
	v_or_b32_e32 v9, 0x4c00, v9
; %bb.13222:                            ;   in Loop: Header=BB0_7082 Depth=1
	s_or_b32 exec_lo, exec_lo, s80
.LBB0_13223:                            ;   in Loop: Header=BB0_7082 Depth=1
	s_and_not1_saveexec_b32 s79, s79
; %bb.13224:                            ;   in Loop: Header=BB0_7082 Depth=1
	s_delay_alu instid0(VALU_DEP_1)
	v_or_b32_e32 v9, 0x5000, v9
; %bb.13225:                            ;   in Loop: Header=BB0_7082 Depth=1
	s_or_b32 exec_lo, exec_lo, s79
.LBB0_13226:                            ;   in Loop: Header=BB0_7082 Depth=1
	s_and_not1_saveexec_b32 s78, s78
; %bb.13227:                            ;   in Loop: Header=BB0_7082 Depth=1
	s_delay_alu instid0(VALU_DEP_1)
	v_or_b32_e32 v9, 0x5400, v9
; %bb.13228:                            ;   in Loop: Header=BB0_7082 Depth=1
	s_or_b32 exec_lo, exec_lo, s78
.LBB0_13229:                            ;   in Loop: Header=BB0_7082 Depth=1
	s_and_not1_saveexec_b32 s77, s77
; %bb.13230:                            ;   in Loop: Header=BB0_7082 Depth=1
	s_delay_alu instid0(VALU_DEP_1)
	v_or_b32_e32 v9, 0x5800, v9
; %bb.13231:                            ;   in Loop: Header=BB0_7082 Depth=1
	s_or_b32 exec_lo, exec_lo, s77
.LBB0_13232:                            ;   in Loop: Header=BB0_7082 Depth=1
	s_and_not1_saveexec_b32 s76, s76
; %bb.13233:                            ;   in Loop: Header=BB0_7082 Depth=1
	s_delay_alu instid0(VALU_DEP_1)
	v_or_b32_e32 v9, 0x5c00, v9
; %bb.13234:                            ;   in Loop: Header=BB0_7082 Depth=1
	s_or_b32 exec_lo, exec_lo, s76
.LBB0_13235:                            ;   in Loop: Header=BB0_7082 Depth=1
	s_and_not1_saveexec_b32 s75, s75
; %bb.13236:                            ;   in Loop: Header=BB0_7082 Depth=1
	s_delay_alu instid0(VALU_DEP_1)
	v_or_b32_e32 v9, 0x6000, v9
; %bb.13237:                            ;   in Loop: Header=BB0_7082 Depth=1
	s_or_b32 exec_lo, exec_lo, s75
.LBB0_13238:                            ;   in Loop: Header=BB0_7082 Depth=1
	s_and_not1_saveexec_b32 s74, s74
; %bb.13239:                            ;   in Loop: Header=BB0_7082 Depth=1
	s_delay_alu instid0(VALU_DEP_1)
	v_or_b32_e32 v9, 0x6400, v9
; %bb.13240:                            ;   in Loop: Header=BB0_7082 Depth=1
	s_or_b32 exec_lo, exec_lo, s74
.LBB0_13241:                            ;   in Loop: Header=BB0_7082 Depth=1
	s_and_not1_saveexec_b32 s73, s73
; %bb.13242:                            ;   in Loop: Header=BB0_7082 Depth=1
	s_delay_alu instid0(VALU_DEP_1)
	v_or_b32_e32 v9, 0x6800, v9
; %bb.13243:                            ;   in Loop: Header=BB0_7082 Depth=1
	s_or_b32 exec_lo, exec_lo, s73
.LBB0_13244:                            ;   in Loop: Header=BB0_7082 Depth=1
	s_and_not1_saveexec_b32 s72, s72
; %bb.13245:                            ;   in Loop: Header=BB0_7082 Depth=1
	s_delay_alu instid0(VALU_DEP_1)
	v_or_b32_e32 v9, 0x6c00, v9
; %bb.13246:                            ;   in Loop: Header=BB0_7082 Depth=1
	s_or_b32 exec_lo, exec_lo, s72
.LBB0_13247:                            ;   in Loop: Header=BB0_7082 Depth=1
	s_and_not1_saveexec_b32 s71, s71
; %bb.13248:                            ;   in Loop: Header=BB0_7082 Depth=1
	s_delay_alu instid0(VALU_DEP_1)
	v_or_b32_e32 v9, 0x7000, v9
; %bb.13249:                            ;   in Loop: Header=BB0_7082 Depth=1
	s_or_b32 exec_lo, exec_lo, s71
.LBB0_13250:                            ;   in Loop: Header=BB0_7082 Depth=1
	s_and_not1_saveexec_b32 s70, s70
; %bb.13251:                            ;   in Loop: Header=BB0_7082 Depth=1
	s_delay_alu instid0(VALU_DEP_1)
	v_or_b32_e32 v9, 0x7400, v9
; %bb.13252:                            ;   in Loop: Header=BB0_7082 Depth=1
	s_or_b32 exec_lo, exec_lo, s70
.LBB0_13253:                            ;   in Loop: Header=BB0_7082 Depth=1
	s_and_not1_saveexec_b32 s69, s69
; %bb.13254:                            ;   in Loop: Header=BB0_7082 Depth=1
	s_delay_alu instid0(VALU_DEP_1)
	v_or_b32_e32 v9, 0x7800, v9
; %bb.13255:                            ;   in Loop: Header=BB0_7082 Depth=1
	s_or_b32 exec_lo, exec_lo, s69
.LBB0_13256:                            ;   in Loop: Header=BB0_7082 Depth=1
	s_and_not1_saveexec_b32 s68, s68
; %bb.13257:                            ;   in Loop: Header=BB0_7082 Depth=1
	s_delay_alu instid0(VALU_DEP_1)
	v_or_b32_e32 v9, 0x7c00, v9
; %bb.13258:                            ;   in Loop: Header=BB0_7082 Depth=1
	s_or_b32 exec_lo, exec_lo, s68
	v_mov_b32_e32 v0, s62
	s_mov_b32 s68, exec_lo
	ds_load_2addr_b64 v[12:15], v0 offset0:174 offset1:175
	ds_load_b64 v[16:17], v0 offset:1408
	s_wait_dscnt 0x1
	v_mul_f64_e32 v[0:1], v[4:5], v[14:15]
	s_delay_alu instid0(VALU_DEP_1) | instskip(SKIP_1) | instid1(VALU_DEP_1)
	v_fmac_f64_e32 v[0:1], v[2:3], v[12:13]
	s_wait_dscnt 0x0
	v_fmac_f64_e32 v[0:1], v[6:7], v[16:17]
	s_delay_alu instid0(VALU_DEP_1)
	v_cmpx_ngt_f64_e32 s[60:61], v[0:1]
	s_xor_b32 s68, exec_lo, s68
	s_cbranch_execz .LBB0_13378
; %bb.13259:                            ;   in Loop: Header=BB0_7082 Depth=1
	s_mov_b32 s69, exec_lo
	v_cmpx_ngt_f64_e32 s[66:67], v[0:1]
	s_xor_b32 s69, exec_lo, s69
	s_cbranch_execz .LBB0_13375
; %bb.13260:                            ;   in Loop: Header=BB0_7082 Depth=1
	s_mov_b32 s70, exec_lo
	;; [unrolled: 5-line block ×30, first 2 shown]
	v_cmpx_gt_f64_e32 s[36:37], v[0:1]
; %bb.13289:                            ;   in Loop: Header=BB0_7082 Depth=1
	v_add_nc_u32_e32 v9, 0x40000, v9
; %bb.13290:                            ;   in Loop: Header=BB0_7082 Depth=1
	s_or_b32 exec_lo, exec_lo, s98
.LBB0_13291:                            ;   in Loop: Header=BB0_7082 Depth=1
	s_and_not1_saveexec_b32 s97, s97
; %bb.13292:                            ;   in Loop: Header=BB0_7082 Depth=1
	s_delay_alu instid0(VALU_DEP_1)
	v_add_nc_u32_e32 v9, 0x80000, v9
; %bb.13293:                            ;   in Loop: Header=BB0_7082 Depth=1
	s_or_b32 exec_lo, exec_lo, s97
.LBB0_13294:                            ;   in Loop: Header=BB0_7082 Depth=1
	s_and_not1_saveexec_b32 s96, s96
; %bb.13295:                            ;   in Loop: Header=BB0_7082 Depth=1
	s_delay_alu instid0(VALU_DEP_1)
	v_add_nc_u32_e32 v9, 0xc0000, v9
; %bb.13296:                            ;   in Loop: Header=BB0_7082 Depth=1
	s_or_b32 exec_lo, exec_lo, s96
.LBB0_13297:                            ;   in Loop: Header=BB0_7082 Depth=1
	s_and_not1_saveexec_b32 s95, s95
; %bb.13298:                            ;   in Loop: Header=BB0_7082 Depth=1
	s_delay_alu instid0(VALU_DEP_1)
	v_add_nc_u32_e32 v9, 0x100000, v9
; %bb.13299:                            ;   in Loop: Header=BB0_7082 Depth=1
	s_or_b32 exec_lo, exec_lo, s95
.LBB0_13300:                            ;   in Loop: Header=BB0_7082 Depth=1
	s_and_not1_saveexec_b32 s94, s94
; %bb.13301:                            ;   in Loop: Header=BB0_7082 Depth=1
	s_delay_alu instid0(VALU_DEP_1)
	v_add_nc_u32_e32 v9, 0x140000, v9
; %bb.13302:                            ;   in Loop: Header=BB0_7082 Depth=1
	s_or_b32 exec_lo, exec_lo, s94
.LBB0_13303:                            ;   in Loop: Header=BB0_7082 Depth=1
	s_and_not1_saveexec_b32 s93, s93
; %bb.13304:                            ;   in Loop: Header=BB0_7082 Depth=1
	s_delay_alu instid0(VALU_DEP_1)
	v_add_nc_u32_e32 v9, 0x180000, v9
; %bb.13305:                            ;   in Loop: Header=BB0_7082 Depth=1
	s_or_b32 exec_lo, exec_lo, s93
.LBB0_13306:                            ;   in Loop: Header=BB0_7082 Depth=1
	s_and_not1_saveexec_b32 s92, s92
; %bb.13307:                            ;   in Loop: Header=BB0_7082 Depth=1
	s_delay_alu instid0(VALU_DEP_1)
	v_add_nc_u32_e32 v9, 0x1c0000, v9
; %bb.13308:                            ;   in Loop: Header=BB0_7082 Depth=1
	s_or_b32 exec_lo, exec_lo, s92
.LBB0_13309:                            ;   in Loop: Header=BB0_7082 Depth=1
	s_and_not1_saveexec_b32 s91, s91
; %bb.13310:                            ;   in Loop: Header=BB0_7082 Depth=1
	s_delay_alu instid0(VALU_DEP_1)
	v_add_nc_u32_e32 v9, 0x200000, v9
; %bb.13311:                            ;   in Loop: Header=BB0_7082 Depth=1
	s_or_b32 exec_lo, exec_lo, s91
.LBB0_13312:                            ;   in Loop: Header=BB0_7082 Depth=1
	s_and_not1_saveexec_b32 s90, s90
; %bb.13313:                            ;   in Loop: Header=BB0_7082 Depth=1
	s_delay_alu instid0(VALU_DEP_1)
	v_add_nc_u32_e32 v9, 0x240000, v9
; %bb.13314:                            ;   in Loop: Header=BB0_7082 Depth=1
	s_or_b32 exec_lo, exec_lo, s90
.LBB0_13315:                            ;   in Loop: Header=BB0_7082 Depth=1
	s_and_not1_saveexec_b32 s89, s89
; %bb.13316:                            ;   in Loop: Header=BB0_7082 Depth=1
	s_delay_alu instid0(VALU_DEP_1)
	v_add_nc_u32_e32 v9, 0x280000, v9
; %bb.13317:                            ;   in Loop: Header=BB0_7082 Depth=1
	s_or_b32 exec_lo, exec_lo, s89
.LBB0_13318:                            ;   in Loop: Header=BB0_7082 Depth=1
	s_and_not1_saveexec_b32 s88, s88
; %bb.13319:                            ;   in Loop: Header=BB0_7082 Depth=1
	s_delay_alu instid0(VALU_DEP_1)
	v_add_nc_u32_e32 v9, 0x2c0000, v9
; %bb.13320:                            ;   in Loop: Header=BB0_7082 Depth=1
	s_or_b32 exec_lo, exec_lo, s88
.LBB0_13321:                            ;   in Loop: Header=BB0_7082 Depth=1
	s_and_not1_saveexec_b32 s87, s87
; %bb.13322:                            ;   in Loop: Header=BB0_7082 Depth=1
	s_delay_alu instid0(VALU_DEP_1)
	v_add_nc_u32_e32 v9, 0x300000, v9
; %bb.13323:                            ;   in Loop: Header=BB0_7082 Depth=1
	s_or_b32 exec_lo, exec_lo, s87
.LBB0_13324:                            ;   in Loop: Header=BB0_7082 Depth=1
	s_and_not1_saveexec_b32 s86, s86
; %bb.13325:                            ;   in Loop: Header=BB0_7082 Depth=1
	s_delay_alu instid0(VALU_DEP_1)
	v_add_nc_u32_e32 v9, 0x340000, v9
; %bb.13326:                            ;   in Loop: Header=BB0_7082 Depth=1
	s_or_b32 exec_lo, exec_lo, s86
.LBB0_13327:                            ;   in Loop: Header=BB0_7082 Depth=1
	s_and_not1_saveexec_b32 s85, s85
; %bb.13328:                            ;   in Loop: Header=BB0_7082 Depth=1
	s_delay_alu instid0(VALU_DEP_1)
	v_add_nc_u32_e32 v9, 0x380000, v9
; %bb.13329:                            ;   in Loop: Header=BB0_7082 Depth=1
	s_or_b32 exec_lo, exec_lo, s85
.LBB0_13330:                            ;   in Loop: Header=BB0_7082 Depth=1
	s_and_not1_saveexec_b32 s84, s84
; %bb.13331:                            ;   in Loop: Header=BB0_7082 Depth=1
	s_delay_alu instid0(VALU_DEP_1)
	v_add_nc_u32_e32 v9, 0x3c0000, v9
; %bb.13332:                            ;   in Loop: Header=BB0_7082 Depth=1
	s_or_b32 exec_lo, exec_lo, s84
.LBB0_13333:                            ;   in Loop: Header=BB0_7082 Depth=1
	s_and_not1_saveexec_b32 s83, s83
; %bb.13334:                            ;   in Loop: Header=BB0_7082 Depth=1
	s_delay_alu instid0(VALU_DEP_1)
	v_add_nc_u32_e32 v9, 0x400000, v9
; %bb.13335:                            ;   in Loop: Header=BB0_7082 Depth=1
	s_or_b32 exec_lo, exec_lo, s83
.LBB0_13336:                            ;   in Loop: Header=BB0_7082 Depth=1
	s_and_not1_saveexec_b32 s82, s82
; %bb.13337:                            ;   in Loop: Header=BB0_7082 Depth=1
	s_delay_alu instid0(VALU_DEP_1)
	v_add_nc_u32_e32 v9, 0x440000, v9
; %bb.13338:                            ;   in Loop: Header=BB0_7082 Depth=1
	s_or_b32 exec_lo, exec_lo, s82
.LBB0_13339:                            ;   in Loop: Header=BB0_7082 Depth=1
	s_and_not1_saveexec_b32 s81, s81
; %bb.13340:                            ;   in Loop: Header=BB0_7082 Depth=1
	s_delay_alu instid0(VALU_DEP_1)
	v_add_nc_u32_e32 v9, 0x480000, v9
; %bb.13341:                            ;   in Loop: Header=BB0_7082 Depth=1
	s_or_b32 exec_lo, exec_lo, s81
.LBB0_13342:                            ;   in Loop: Header=BB0_7082 Depth=1
	s_and_not1_saveexec_b32 s80, s80
; %bb.13343:                            ;   in Loop: Header=BB0_7082 Depth=1
	s_delay_alu instid0(VALU_DEP_1)
	v_add_nc_u32_e32 v9, 0x4c0000, v9
; %bb.13344:                            ;   in Loop: Header=BB0_7082 Depth=1
	s_or_b32 exec_lo, exec_lo, s80
.LBB0_13345:                            ;   in Loop: Header=BB0_7082 Depth=1
	s_and_not1_saveexec_b32 s79, s79
; %bb.13346:                            ;   in Loop: Header=BB0_7082 Depth=1
	s_delay_alu instid0(VALU_DEP_1)
	v_add_nc_u32_e32 v9, 0x500000, v9
; %bb.13347:                            ;   in Loop: Header=BB0_7082 Depth=1
	s_or_b32 exec_lo, exec_lo, s79
.LBB0_13348:                            ;   in Loop: Header=BB0_7082 Depth=1
	s_and_not1_saveexec_b32 s78, s78
; %bb.13349:                            ;   in Loop: Header=BB0_7082 Depth=1
	s_delay_alu instid0(VALU_DEP_1)
	v_add_nc_u32_e32 v9, 0x540000, v9
; %bb.13350:                            ;   in Loop: Header=BB0_7082 Depth=1
	s_or_b32 exec_lo, exec_lo, s78
.LBB0_13351:                            ;   in Loop: Header=BB0_7082 Depth=1
	s_and_not1_saveexec_b32 s77, s77
; %bb.13352:                            ;   in Loop: Header=BB0_7082 Depth=1
	s_delay_alu instid0(VALU_DEP_1)
	v_add_nc_u32_e32 v9, 0x580000, v9
; %bb.13353:                            ;   in Loop: Header=BB0_7082 Depth=1
	s_or_b32 exec_lo, exec_lo, s77
.LBB0_13354:                            ;   in Loop: Header=BB0_7082 Depth=1
	s_and_not1_saveexec_b32 s76, s76
; %bb.13355:                            ;   in Loop: Header=BB0_7082 Depth=1
	s_delay_alu instid0(VALU_DEP_1)
	v_add_nc_u32_e32 v9, 0x5c0000, v9
; %bb.13356:                            ;   in Loop: Header=BB0_7082 Depth=1
	s_or_b32 exec_lo, exec_lo, s76
.LBB0_13357:                            ;   in Loop: Header=BB0_7082 Depth=1
	s_and_not1_saveexec_b32 s75, s75
; %bb.13358:                            ;   in Loop: Header=BB0_7082 Depth=1
	s_delay_alu instid0(VALU_DEP_1)
	v_add_nc_u32_e32 v9, 0x600000, v9
; %bb.13359:                            ;   in Loop: Header=BB0_7082 Depth=1
	s_or_b32 exec_lo, exec_lo, s75
.LBB0_13360:                            ;   in Loop: Header=BB0_7082 Depth=1
	s_and_not1_saveexec_b32 s74, s74
; %bb.13361:                            ;   in Loop: Header=BB0_7082 Depth=1
	s_delay_alu instid0(VALU_DEP_1)
	v_add_nc_u32_e32 v9, 0x640000, v9
; %bb.13362:                            ;   in Loop: Header=BB0_7082 Depth=1
	s_or_b32 exec_lo, exec_lo, s74
.LBB0_13363:                            ;   in Loop: Header=BB0_7082 Depth=1
	s_and_not1_saveexec_b32 s73, s73
; %bb.13364:                            ;   in Loop: Header=BB0_7082 Depth=1
	s_delay_alu instid0(VALU_DEP_1)
	v_add_nc_u32_e32 v9, 0x680000, v9
; %bb.13365:                            ;   in Loop: Header=BB0_7082 Depth=1
	s_or_b32 exec_lo, exec_lo, s73
.LBB0_13366:                            ;   in Loop: Header=BB0_7082 Depth=1
	s_and_not1_saveexec_b32 s72, s72
; %bb.13367:                            ;   in Loop: Header=BB0_7082 Depth=1
	s_delay_alu instid0(VALU_DEP_1)
	v_add_nc_u32_e32 v9, 0x6c0000, v9
; %bb.13368:                            ;   in Loop: Header=BB0_7082 Depth=1
	s_or_b32 exec_lo, exec_lo, s72
.LBB0_13369:                            ;   in Loop: Header=BB0_7082 Depth=1
	s_and_not1_saveexec_b32 s71, s71
; %bb.13370:                            ;   in Loop: Header=BB0_7082 Depth=1
	s_delay_alu instid0(VALU_DEP_1)
	v_add_nc_u32_e32 v9, 0x700000, v9
; %bb.13371:                            ;   in Loop: Header=BB0_7082 Depth=1
	s_or_b32 exec_lo, exec_lo, s71
.LBB0_13372:                            ;   in Loop: Header=BB0_7082 Depth=1
	s_and_not1_saveexec_b32 s70, s70
; %bb.13373:                            ;   in Loop: Header=BB0_7082 Depth=1
	s_delay_alu instid0(VALU_DEP_1)
	v_add_nc_u32_e32 v9, 0x740000, v9
; %bb.13374:                            ;   in Loop: Header=BB0_7082 Depth=1
	s_or_b32 exec_lo, exec_lo, s70
.LBB0_13375:                            ;   in Loop: Header=BB0_7082 Depth=1
	s_and_not1_saveexec_b32 s69, s69
; %bb.13376:                            ;   in Loop: Header=BB0_7082 Depth=1
	s_delay_alu instid0(VALU_DEP_1)
	v_add_nc_u32_e32 v9, 0x780000, v9
; %bb.13377:                            ;   in Loop: Header=BB0_7082 Depth=1
	s_or_b32 exec_lo, exec_lo, s69
.LBB0_13378:                            ;   in Loop: Header=BB0_7082 Depth=1
	s_and_not1_saveexec_b32 s68, s68
; %bb.13379:                            ;   in Loop: Header=BB0_7082 Depth=1
	s_delay_alu instid0(VALU_DEP_1)
	v_add_nc_u32_e32 v9, 0x7c0000, v9
; %bb.13380:                            ;   in Loop: Header=BB0_7082 Depth=1
	s_or_b32 exec_lo, exec_lo, s68
	v_mov_b32_e32 v0, s62
	s_mov_b32 s68, exec_lo
	ds_load_2addr_b64 v[12:15], v0 offset0:177 offset1:178
	ds_load_b64 v[16:17], v0 offset:1432
	s_wait_dscnt 0x1
	v_mul_f64_e32 v[0:1], v[4:5], v[14:15]
	s_delay_alu instid0(VALU_DEP_1) | instskip(SKIP_1) | instid1(VALU_DEP_1)
	v_fmac_f64_e32 v[0:1], v[2:3], v[12:13]
	s_wait_dscnt 0x0
	v_fmac_f64_e32 v[0:1], v[6:7], v[16:17]
	s_delay_alu instid0(VALU_DEP_1)
	v_cmpx_ngt_f64_e32 s[60:61], v[0:1]
	s_xor_b32 s68, exec_lo, s68
	s_cbranch_execz .LBB0_13500
; %bb.13381:                            ;   in Loop: Header=BB0_7082 Depth=1
	s_mov_b32 s69, exec_lo
	v_cmpx_ngt_f64_e32 s[66:67], v[0:1]
	s_xor_b32 s69, exec_lo, s69
	s_cbranch_execz .LBB0_13497
; %bb.13382:                            ;   in Loop: Header=BB0_7082 Depth=1
	s_mov_b32 s70, exec_lo
	;; [unrolled: 5-line block ×30, first 2 shown]
	v_cmpx_gt_f64_e32 s[36:37], v[0:1]
; %bb.13411:                            ;   in Loop: Header=BB0_7082 Depth=1
	v_add_nc_u32_e32 v9, 0x4000000, v9
; %bb.13412:                            ;   in Loop: Header=BB0_7082 Depth=1
	s_or_b32 exec_lo, exec_lo, s98
.LBB0_13413:                            ;   in Loop: Header=BB0_7082 Depth=1
	s_and_not1_saveexec_b32 s97, s97
; %bb.13414:                            ;   in Loop: Header=BB0_7082 Depth=1
	s_delay_alu instid0(VALU_DEP_1)
	v_add_nc_u32_e32 v9, 0x8000000, v9
; %bb.13415:                            ;   in Loop: Header=BB0_7082 Depth=1
	s_or_b32 exec_lo, exec_lo, s97
.LBB0_13416:                            ;   in Loop: Header=BB0_7082 Depth=1
	s_and_not1_saveexec_b32 s96, s96
; %bb.13417:                            ;   in Loop: Header=BB0_7082 Depth=1
	s_delay_alu instid0(VALU_DEP_1)
	v_add_nc_u32_e32 v9, 0xc000000, v9
; %bb.13418:                            ;   in Loop: Header=BB0_7082 Depth=1
	s_or_b32 exec_lo, exec_lo, s96
.LBB0_13419:                            ;   in Loop: Header=BB0_7082 Depth=1
	s_and_not1_saveexec_b32 s95, s95
; %bb.13420:                            ;   in Loop: Header=BB0_7082 Depth=1
	s_delay_alu instid0(VALU_DEP_1)
	v_add_nc_u32_e32 v9, 0x10000000, v9
; %bb.13421:                            ;   in Loop: Header=BB0_7082 Depth=1
	s_or_b32 exec_lo, exec_lo, s95
.LBB0_13422:                            ;   in Loop: Header=BB0_7082 Depth=1
	s_and_not1_saveexec_b32 s94, s94
; %bb.13423:                            ;   in Loop: Header=BB0_7082 Depth=1
	s_delay_alu instid0(VALU_DEP_1)
	v_add_nc_u32_e32 v9, 0x14000000, v9
; %bb.13424:                            ;   in Loop: Header=BB0_7082 Depth=1
	s_or_b32 exec_lo, exec_lo, s94
.LBB0_13425:                            ;   in Loop: Header=BB0_7082 Depth=1
	s_and_not1_saveexec_b32 s93, s93
; %bb.13426:                            ;   in Loop: Header=BB0_7082 Depth=1
	s_delay_alu instid0(VALU_DEP_1)
	v_add_nc_u32_e32 v9, 0x18000000, v9
; %bb.13427:                            ;   in Loop: Header=BB0_7082 Depth=1
	s_or_b32 exec_lo, exec_lo, s93
.LBB0_13428:                            ;   in Loop: Header=BB0_7082 Depth=1
	s_and_not1_saveexec_b32 s92, s92
; %bb.13429:                            ;   in Loop: Header=BB0_7082 Depth=1
	s_delay_alu instid0(VALU_DEP_1)
	v_add_nc_u32_e32 v9, 0x1c000000, v9
; %bb.13430:                            ;   in Loop: Header=BB0_7082 Depth=1
	s_or_b32 exec_lo, exec_lo, s92
.LBB0_13431:                            ;   in Loop: Header=BB0_7082 Depth=1
	s_and_not1_saveexec_b32 s91, s91
; %bb.13432:                            ;   in Loop: Header=BB0_7082 Depth=1
	s_delay_alu instid0(VALU_DEP_1)
	v_add_nc_u32_e32 v9, 0x20000000, v9
; %bb.13433:                            ;   in Loop: Header=BB0_7082 Depth=1
	s_or_b32 exec_lo, exec_lo, s91
.LBB0_13434:                            ;   in Loop: Header=BB0_7082 Depth=1
	s_and_not1_saveexec_b32 s90, s90
; %bb.13435:                            ;   in Loop: Header=BB0_7082 Depth=1
	s_delay_alu instid0(VALU_DEP_1)
	v_add_nc_u32_e32 v9, 0x24000000, v9
; %bb.13436:                            ;   in Loop: Header=BB0_7082 Depth=1
	s_or_b32 exec_lo, exec_lo, s90
.LBB0_13437:                            ;   in Loop: Header=BB0_7082 Depth=1
	s_and_not1_saveexec_b32 s89, s89
; %bb.13438:                            ;   in Loop: Header=BB0_7082 Depth=1
	s_delay_alu instid0(VALU_DEP_1)
	v_add_nc_u32_e32 v9, 0x28000000, v9
; %bb.13439:                            ;   in Loop: Header=BB0_7082 Depth=1
	s_or_b32 exec_lo, exec_lo, s89
.LBB0_13440:                            ;   in Loop: Header=BB0_7082 Depth=1
	s_and_not1_saveexec_b32 s88, s88
; %bb.13441:                            ;   in Loop: Header=BB0_7082 Depth=1
	s_delay_alu instid0(VALU_DEP_1)
	v_add_nc_u32_e32 v9, 0x2c000000, v9
; %bb.13442:                            ;   in Loop: Header=BB0_7082 Depth=1
	s_or_b32 exec_lo, exec_lo, s88
.LBB0_13443:                            ;   in Loop: Header=BB0_7082 Depth=1
	s_and_not1_saveexec_b32 s87, s87
; %bb.13444:                            ;   in Loop: Header=BB0_7082 Depth=1
	s_delay_alu instid0(VALU_DEP_1)
	v_add_nc_u32_e32 v9, 0x30000000, v9
; %bb.13445:                            ;   in Loop: Header=BB0_7082 Depth=1
	s_or_b32 exec_lo, exec_lo, s87
.LBB0_13446:                            ;   in Loop: Header=BB0_7082 Depth=1
	s_and_not1_saveexec_b32 s86, s86
; %bb.13447:                            ;   in Loop: Header=BB0_7082 Depth=1
	s_delay_alu instid0(VALU_DEP_1)
	v_add_nc_u32_e32 v9, 0x34000000, v9
; %bb.13448:                            ;   in Loop: Header=BB0_7082 Depth=1
	s_or_b32 exec_lo, exec_lo, s86
.LBB0_13449:                            ;   in Loop: Header=BB0_7082 Depth=1
	s_and_not1_saveexec_b32 s85, s85
; %bb.13450:                            ;   in Loop: Header=BB0_7082 Depth=1
	s_delay_alu instid0(VALU_DEP_1)
	v_add_nc_u32_e32 v9, 0x38000000, v9
; %bb.13451:                            ;   in Loop: Header=BB0_7082 Depth=1
	s_or_b32 exec_lo, exec_lo, s85
.LBB0_13452:                            ;   in Loop: Header=BB0_7082 Depth=1
	s_and_not1_saveexec_b32 s84, s84
; %bb.13453:                            ;   in Loop: Header=BB0_7082 Depth=1
	s_delay_alu instid0(VALU_DEP_1)
	v_add_nc_u32_e32 v9, 0x3c000000, v9
; %bb.13454:                            ;   in Loop: Header=BB0_7082 Depth=1
	s_or_b32 exec_lo, exec_lo, s84
.LBB0_13455:                            ;   in Loop: Header=BB0_7082 Depth=1
	s_and_not1_saveexec_b32 s83, s83
; %bb.13456:                            ;   in Loop: Header=BB0_7082 Depth=1
	s_delay_alu instid0(VALU_DEP_1)
	v_add_nc_u32_e32 v9, 2.0, v9
; %bb.13457:                            ;   in Loop: Header=BB0_7082 Depth=1
	s_or_b32 exec_lo, exec_lo, s83
.LBB0_13458:                            ;   in Loop: Header=BB0_7082 Depth=1
	s_and_not1_saveexec_b32 s82, s82
; %bb.13459:                            ;   in Loop: Header=BB0_7082 Depth=1
	s_delay_alu instid0(VALU_DEP_1)
	v_add_nc_u32_e32 v9, 0x44000000, v9
; %bb.13460:                            ;   in Loop: Header=BB0_7082 Depth=1
	s_or_b32 exec_lo, exec_lo, s82
.LBB0_13461:                            ;   in Loop: Header=BB0_7082 Depth=1
	s_and_not1_saveexec_b32 s81, s81
; %bb.13462:                            ;   in Loop: Header=BB0_7082 Depth=1
	s_delay_alu instid0(VALU_DEP_1)
	v_add_nc_u32_e32 v9, 0x48000000, v9
; %bb.13463:                            ;   in Loop: Header=BB0_7082 Depth=1
	s_or_b32 exec_lo, exec_lo, s81
.LBB0_13464:                            ;   in Loop: Header=BB0_7082 Depth=1
	s_and_not1_saveexec_b32 s80, s80
; %bb.13465:                            ;   in Loop: Header=BB0_7082 Depth=1
	s_delay_alu instid0(VALU_DEP_1)
	v_add_nc_u32_e32 v9, 0x4c000000, v9
; %bb.13466:                            ;   in Loop: Header=BB0_7082 Depth=1
	s_or_b32 exec_lo, exec_lo, s80
.LBB0_13467:                            ;   in Loop: Header=BB0_7082 Depth=1
	s_and_not1_saveexec_b32 s79, s79
; %bb.13468:                            ;   in Loop: Header=BB0_7082 Depth=1
	s_delay_alu instid0(VALU_DEP_1)
	v_add_nc_u32_e32 v9, 0x50000000, v9
; %bb.13469:                            ;   in Loop: Header=BB0_7082 Depth=1
	s_or_b32 exec_lo, exec_lo, s79
.LBB0_13470:                            ;   in Loop: Header=BB0_7082 Depth=1
	s_and_not1_saveexec_b32 s78, s78
; %bb.13471:                            ;   in Loop: Header=BB0_7082 Depth=1
	s_delay_alu instid0(VALU_DEP_1)
	v_add_nc_u32_e32 v9, 0x54000000, v9
; %bb.13472:                            ;   in Loop: Header=BB0_7082 Depth=1
	s_or_b32 exec_lo, exec_lo, s78
.LBB0_13473:                            ;   in Loop: Header=BB0_7082 Depth=1
	s_and_not1_saveexec_b32 s77, s77
; %bb.13474:                            ;   in Loop: Header=BB0_7082 Depth=1
	s_delay_alu instid0(VALU_DEP_1)
	v_add_nc_u32_e32 v9, 0x58000000, v9
; %bb.13475:                            ;   in Loop: Header=BB0_7082 Depth=1
	s_or_b32 exec_lo, exec_lo, s77
.LBB0_13476:                            ;   in Loop: Header=BB0_7082 Depth=1
	s_and_not1_saveexec_b32 s76, s76
; %bb.13477:                            ;   in Loop: Header=BB0_7082 Depth=1
	s_delay_alu instid0(VALU_DEP_1)
	v_add_nc_u32_e32 v9, 0x5c000000, v9
; %bb.13478:                            ;   in Loop: Header=BB0_7082 Depth=1
	s_or_b32 exec_lo, exec_lo, s76
.LBB0_13479:                            ;   in Loop: Header=BB0_7082 Depth=1
	s_and_not1_saveexec_b32 s75, s75
; %bb.13480:                            ;   in Loop: Header=BB0_7082 Depth=1
	s_delay_alu instid0(VALU_DEP_1)
	v_add_nc_u32_e32 v9, 0x60000000, v9
; %bb.13481:                            ;   in Loop: Header=BB0_7082 Depth=1
	s_or_b32 exec_lo, exec_lo, s75
.LBB0_13482:                            ;   in Loop: Header=BB0_7082 Depth=1
	s_and_not1_saveexec_b32 s74, s74
; %bb.13483:                            ;   in Loop: Header=BB0_7082 Depth=1
	s_delay_alu instid0(VALU_DEP_1)
	v_add_nc_u32_e32 v9, 0x64000000, v9
; %bb.13484:                            ;   in Loop: Header=BB0_7082 Depth=1
	s_or_b32 exec_lo, exec_lo, s74
.LBB0_13485:                            ;   in Loop: Header=BB0_7082 Depth=1
	s_and_not1_saveexec_b32 s73, s73
; %bb.13486:                            ;   in Loop: Header=BB0_7082 Depth=1
	s_delay_alu instid0(VALU_DEP_1)
	v_add_nc_u32_e32 v9, 0x68000000, v9
; %bb.13487:                            ;   in Loop: Header=BB0_7082 Depth=1
	s_or_b32 exec_lo, exec_lo, s73
.LBB0_13488:                            ;   in Loop: Header=BB0_7082 Depth=1
	s_and_not1_saveexec_b32 s72, s72
; %bb.13489:                            ;   in Loop: Header=BB0_7082 Depth=1
	s_delay_alu instid0(VALU_DEP_1)
	v_add_nc_u32_e32 v9, 0x6c000000, v9
; %bb.13490:                            ;   in Loop: Header=BB0_7082 Depth=1
	s_or_b32 exec_lo, exec_lo, s72
.LBB0_13491:                            ;   in Loop: Header=BB0_7082 Depth=1
	s_and_not1_saveexec_b32 s71, s71
; %bb.13492:                            ;   in Loop: Header=BB0_7082 Depth=1
	s_delay_alu instid0(VALU_DEP_1)
	v_add_nc_u32_e32 v9, 0x70000000, v9
; %bb.13493:                            ;   in Loop: Header=BB0_7082 Depth=1
	s_or_b32 exec_lo, exec_lo, s71
.LBB0_13494:                            ;   in Loop: Header=BB0_7082 Depth=1
	s_and_not1_saveexec_b32 s70, s70
; %bb.13495:                            ;   in Loop: Header=BB0_7082 Depth=1
	s_delay_alu instid0(VALU_DEP_1)
	v_add_nc_u32_e32 v9, 0x74000000, v9
; %bb.13496:                            ;   in Loop: Header=BB0_7082 Depth=1
	s_or_b32 exec_lo, exec_lo, s70
.LBB0_13497:                            ;   in Loop: Header=BB0_7082 Depth=1
	s_and_not1_saveexec_b32 s69, s69
; %bb.13498:                            ;   in Loop: Header=BB0_7082 Depth=1
	s_delay_alu instid0(VALU_DEP_1)
	v_add_nc_u32_e32 v9, 0x78000000, v9
; %bb.13499:                            ;   in Loop: Header=BB0_7082 Depth=1
	s_or_b32 exec_lo, exec_lo, s69
.LBB0_13500:                            ;   in Loop: Header=BB0_7082 Depth=1
	s_and_not1_saveexec_b32 s68, s68
; %bb.13501:                            ;   in Loop: Header=BB0_7082 Depth=1
	s_delay_alu instid0(VALU_DEP_1)
	v_add_nc_u32_e32 v9, 0x7c000000, v9
; %bb.13502:                            ;   in Loop: Header=BB0_7082 Depth=1
	s_or_b32 exec_lo, exec_lo, s68
	v_mov_b32_e32 v0, s62
	v_add3_u32 v11, v10, s63, 0x38000
	v_mov_b32_e32 v8, 0x7c
	s_mov_b32 s63, exec_lo
	ds_load_2addr_b64 v[12:15], v0 offset0:180 offset1:181
	ds_load_b64 v[16:17], v0 offset:1456
	global_store_b32 v11, v9, s[34:35] scale_offset
	s_wait_dscnt 0x1
	v_mul_f64_e32 v[0:1], v[4:5], v[14:15]
	s_delay_alu instid0(VALU_DEP_1) | instskip(SKIP_1) | instid1(VALU_DEP_1)
	v_fmac_f64_e32 v[0:1], v[2:3], v[12:13]
	s_wait_dscnt 0x0
	v_fmac_f64_e32 v[0:1], v[6:7], v[16:17]
	s_wait_xcnt 0x0
	s_delay_alu instid0(VALU_DEP_1)
	v_cmpx_ngt_f64_e32 s[60:61], v[0:1]
	s_cbranch_execz .LBB0_13564
; %bb.13503:                            ;   in Loop: Header=BB0_7082 Depth=1
	v_mov_b32_e32 v8, 0x78
	s_mov_b32 s68, exec_lo
	v_cmpx_ngt_f64_e32 s[66:67], v[0:1]
	s_cbranch_execz .LBB0_13563
; %bb.13504:                            ;   in Loop: Header=BB0_7082 Depth=1
	v_mov_b32_e32 v8, 0x74
	s_mov_b32 s69, exec_lo
	;; [unrolled: 5-line block ×30, first 2 shown]
	v_cmpx_gt_f64_e32 s[36:37], v[0:1]
; %bb.13533:                            ;   in Loop: Header=BB0_7082 Depth=1
	v_mov_b32_e32 v8, 4
; %bb.13534:                            ;   in Loop: Header=BB0_7082 Depth=1
	s_or_b32 exec_lo, exec_lo, s97
.LBB0_13535:                            ;   in Loop: Header=BB0_7082 Depth=1
	s_delay_alu instid0(SALU_CYCLE_1)
	s_or_b32 exec_lo, exec_lo, s96
.LBB0_13536:                            ;   in Loop: Header=BB0_7082 Depth=1
	s_delay_alu instid0(SALU_CYCLE_1)
	s_or_b32 exec_lo, exec_lo, s95
.LBB0_13537:                            ;   in Loop: Header=BB0_7082 Depth=1
	s_delay_alu instid0(SALU_CYCLE_1)
	s_or_b32 exec_lo, exec_lo, s94
.LBB0_13538:                            ;   in Loop: Header=BB0_7082 Depth=1
	s_delay_alu instid0(SALU_CYCLE_1)
	s_or_b32 exec_lo, exec_lo, s93
.LBB0_13539:                            ;   in Loop: Header=BB0_7082 Depth=1
	s_delay_alu instid0(SALU_CYCLE_1)
	s_or_b32 exec_lo, exec_lo, s92
.LBB0_13540:                            ;   in Loop: Header=BB0_7082 Depth=1
	s_delay_alu instid0(SALU_CYCLE_1)
	s_or_b32 exec_lo, exec_lo, s91
.LBB0_13541:                            ;   in Loop: Header=BB0_7082 Depth=1
	s_delay_alu instid0(SALU_CYCLE_1)
	s_or_b32 exec_lo, exec_lo, s90
.LBB0_13542:                            ;   in Loop: Header=BB0_7082 Depth=1
	s_delay_alu instid0(SALU_CYCLE_1)
	s_or_b32 exec_lo, exec_lo, s89
.LBB0_13543:                            ;   in Loop: Header=BB0_7082 Depth=1
	s_delay_alu instid0(SALU_CYCLE_1)
	s_or_b32 exec_lo, exec_lo, s88
.LBB0_13544:                            ;   in Loop: Header=BB0_7082 Depth=1
	s_delay_alu instid0(SALU_CYCLE_1)
	s_or_b32 exec_lo, exec_lo, s87
.LBB0_13545:                            ;   in Loop: Header=BB0_7082 Depth=1
	s_delay_alu instid0(SALU_CYCLE_1)
	s_or_b32 exec_lo, exec_lo, s86
.LBB0_13546:                            ;   in Loop: Header=BB0_7082 Depth=1
	s_delay_alu instid0(SALU_CYCLE_1)
	s_or_b32 exec_lo, exec_lo, s85
.LBB0_13547:                            ;   in Loop: Header=BB0_7082 Depth=1
	s_delay_alu instid0(SALU_CYCLE_1)
	s_or_b32 exec_lo, exec_lo, s84
.LBB0_13548:                            ;   in Loop: Header=BB0_7082 Depth=1
	s_delay_alu instid0(SALU_CYCLE_1)
	s_or_b32 exec_lo, exec_lo, s83
.LBB0_13549:                            ;   in Loop: Header=BB0_7082 Depth=1
	s_delay_alu instid0(SALU_CYCLE_1)
	s_or_b32 exec_lo, exec_lo, s82
.LBB0_13550:                            ;   in Loop: Header=BB0_7082 Depth=1
	s_delay_alu instid0(SALU_CYCLE_1)
	s_or_b32 exec_lo, exec_lo, s81
.LBB0_13551:                            ;   in Loop: Header=BB0_7082 Depth=1
	s_delay_alu instid0(SALU_CYCLE_1)
	s_or_b32 exec_lo, exec_lo, s80
.LBB0_13552:                            ;   in Loop: Header=BB0_7082 Depth=1
	s_delay_alu instid0(SALU_CYCLE_1)
	s_or_b32 exec_lo, exec_lo, s79
.LBB0_13553:                            ;   in Loop: Header=BB0_7082 Depth=1
	s_delay_alu instid0(SALU_CYCLE_1)
	s_or_b32 exec_lo, exec_lo, s78
.LBB0_13554:                            ;   in Loop: Header=BB0_7082 Depth=1
	s_delay_alu instid0(SALU_CYCLE_1)
	s_or_b32 exec_lo, exec_lo, s77
.LBB0_13555:                            ;   in Loop: Header=BB0_7082 Depth=1
	s_delay_alu instid0(SALU_CYCLE_1)
	s_or_b32 exec_lo, exec_lo, s76
.LBB0_13556:                            ;   in Loop: Header=BB0_7082 Depth=1
	s_delay_alu instid0(SALU_CYCLE_1)
	s_or_b32 exec_lo, exec_lo, s75
.LBB0_13557:                            ;   in Loop: Header=BB0_7082 Depth=1
	s_delay_alu instid0(SALU_CYCLE_1)
	s_or_b32 exec_lo, exec_lo, s74
.LBB0_13558:                            ;   in Loop: Header=BB0_7082 Depth=1
	s_delay_alu instid0(SALU_CYCLE_1)
	s_or_b32 exec_lo, exec_lo, s73
.LBB0_13559:                            ;   in Loop: Header=BB0_7082 Depth=1
	s_delay_alu instid0(SALU_CYCLE_1)
	s_or_b32 exec_lo, exec_lo, s72
.LBB0_13560:                            ;   in Loop: Header=BB0_7082 Depth=1
	s_delay_alu instid0(SALU_CYCLE_1)
	s_or_b32 exec_lo, exec_lo, s71
.LBB0_13561:                            ;   in Loop: Header=BB0_7082 Depth=1
	s_delay_alu instid0(SALU_CYCLE_1)
	s_or_b32 exec_lo, exec_lo, s70
.LBB0_13562:                            ;   in Loop: Header=BB0_7082 Depth=1
	s_delay_alu instid0(SALU_CYCLE_1)
	s_or_b32 exec_lo, exec_lo, s69
.LBB0_13563:                            ;   in Loop: Header=BB0_7082 Depth=1
	s_delay_alu instid0(SALU_CYCLE_1)
	s_or_b32 exec_lo, exec_lo, s68
.LBB0_13564:                            ;   in Loop: Header=BB0_7082 Depth=1
	s_delay_alu instid0(SALU_CYCLE_1)
	s_or_b32 exec_lo, exec_lo, s63
	v_mov_b32_e32 v0, s62
	s_mov_b32 s63, exec_lo
	ds_load_2addr_b64 v[12:15], v0 offset0:183 offset1:184
	ds_load_b64 v[16:17], v0 offset:1480
	s_wait_dscnt 0x1
	v_mul_f64_e32 v[0:1], v[4:5], v[14:15]
	s_delay_alu instid0(VALU_DEP_1) | instskip(SKIP_1) | instid1(VALU_DEP_1)
	v_fmac_f64_e32 v[0:1], v[2:3], v[12:13]
	s_wait_dscnt 0x0
	v_fmac_f64_e32 v[0:1], v[6:7], v[16:17]
	s_delay_alu instid0(VALU_DEP_1)
	v_cmpx_ngt_f64_e32 s[60:61], v[0:1]
	s_xor_b32 s63, exec_lo, s63
	s_cbranch_execz .LBB0_13684
; %bb.13565:                            ;   in Loop: Header=BB0_7082 Depth=1
	s_mov_b32 s68, exec_lo
	v_cmpx_ngt_f64_e32 s[66:67], v[0:1]
	s_xor_b32 s68, exec_lo, s68
	s_cbranch_execz .LBB0_13681
; %bb.13566:                            ;   in Loop: Header=BB0_7082 Depth=1
	s_mov_b32 s69, exec_lo
	;; [unrolled: 5-line block ×30, first 2 shown]
	v_cmpx_gt_f64_e32 s[36:37], v[0:1]
; %bb.13595:                            ;   in Loop: Header=BB0_7082 Depth=1
	v_or_b32_e32 v8, 0x400, v8
; %bb.13596:                            ;   in Loop: Header=BB0_7082 Depth=1
	s_or_b32 exec_lo, exec_lo, s97
.LBB0_13597:                            ;   in Loop: Header=BB0_7082 Depth=1
	s_and_not1_saveexec_b32 s96, s96
; %bb.13598:                            ;   in Loop: Header=BB0_7082 Depth=1
	s_delay_alu instid0(VALU_DEP_1)
	v_or_b32_e32 v8, 0x800, v8
; %bb.13599:                            ;   in Loop: Header=BB0_7082 Depth=1
	s_or_b32 exec_lo, exec_lo, s96
.LBB0_13600:                            ;   in Loop: Header=BB0_7082 Depth=1
	s_and_not1_saveexec_b32 s95, s95
; %bb.13601:                            ;   in Loop: Header=BB0_7082 Depth=1
	s_delay_alu instid0(VALU_DEP_1)
	v_or_b32_e32 v8, 0xc00, v8
; %bb.13602:                            ;   in Loop: Header=BB0_7082 Depth=1
	s_or_b32 exec_lo, exec_lo, s95
.LBB0_13603:                            ;   in Loop: Header=BB0_7082 Depth=1
	s_and_not1_saveexec_b32 s94, s94
; %bb.13604:                            ;   in Loop: Header=BB0_7082 Depth=1
	s_delay_alu instid0(VALU_DEP_1)
	v_or_b32_e32 v8, 0x1000, v8
; %bb.13605:                            ;   in Loop: Header=BB0_7082 Depth=1
	s_or_b32 exec_lo, exec_lo, s94
.LBB0_13606:                            ;   in Loop: Header=BB0_7082 Depth=1
	s_and_not1_saveexec_b32 s93, s93
; %bb.13607:                            ;   in Loop: Header=BB0_7082 Depth=1
	s_delay_alu instid0(VALU_DEP_1)
	v_or_b32_e32 v8, 0x1400, v8
; %bb.13608:                            ;   in Loop: Header=BB0_7082 Depth=1
	s_or_b32 exec_lo, exec_lo, s93
.LBB0_13609:                            ;   in Loop: Header=BB0_7082 Depth=1
	s_and_not1_saveexec_b32 s92, s92
; %bb.13610:                            ;   in Loop: Header=BB0_7082 Depth=1
	s_delay_alu instid0(VALU_DEP_1)
	v_or_b32_e32 v8, 0x1800, v8
; %bb.13611:                            ;   in Loop: Header=BB0_7082 Depth=1
	s_or_b32 exec_lo, exec_lo, s92
.LBB0_13612:                            ;   in Loop: Header=BB0_7082 Depth=1
	s_and_not1_saveexec_b32 s91, s91
; %bb.13613:                            ;   in Loop: Header=BB0_7082 Depth=1
	s_delay_alu instid0(VALU_DEP_1)
	v_or_b32_e32 v8, 0x1c00, v8
; %bb.13614:                            ;   in Loop: Header=BB0_7082 Depth=1
	s_or_b32 exec_lo, exec_lo, s91
.LBB0_13615:                            ;   in Loop: Header=BB0_7082 Depth=1
	s_and_not1_saveexec_b32 s90, s90
; %bb.13616:                            ;   in Loop: Header=BB0_7082 Depth=1
	s_delay_alu instid0(VALU_DEP_1)
	v_or_b32_e32 v8, 0x2000, v8
; %bb.13617:                            ;   in Loop: Header=BB0_7082 Depth=1
	s_or_b32 exec_lo, exec_lo, s90
.LBB0_13618:                            ;   in Loop: Header=BB0_7082 Depth=1
	s_and_not1_saveexec_b32 s89, s89
; %bb.13619:                            ;   in Loop: Header=BB0_7082 Depth=1
	s_delay_alu instid0(VALU_DEP_1)
	v_or_b32_e32 v8, 0x2400, v8
; %bb.13620:                            ;   in Loop: Header=BB0_7082 Depth=1
	s_or_b32 exec_lo, exec_lo, s89
.LBB0_13621:                            ;   in Loop: Header=BB0_7082 Depth=1
	s_and_not1_saveexec_b32 s88, s88
; %bb.13622:                            ;   in Loop: Header=BB0_7082 Depth=1
	s_delay_alu instid0(VALU_DEP_1)
	v_or_b32_e32 v8, 0x2800, v8
; %bb.13623:                            ;   in Loop: Header=BB0_7082 Depth=1
	s_or_b32 exec_lo, exec_lo, s88
.LBB0_13624:                            ;   in Loop: Header=BB0_7082 Depth=1
	s_and_not1_saveexec_b32 s87, s87
; %bb.13625:                            ;   in Loop: Header=BB0_7082 Depth=1
	s_delay_alu instid0(VALU_DEP_1)
	v_or_b32_e32 v8, 0x2c00, v8
; %bb.13626:                            ;   in Loop: Header=BB0_7082 Depth=1
	s_or_b32 exec_lo, exec_lo, s87
.LBB0_13627:                            ;   in Loop: Header=BB0_7082 Depth=1
	s_and_not1_saveexec_b32 s86, s86
; %bb.13628:                            ;   in Loop: Header=BB0_7082 Depth=1
	s_delay_alu instid0(VALU_DEP_1)
	v_or_b32_e32 v8, 0x3000, v8
; %bb.13629:                            ;   in Loop: Header=BB0_7082 Depth=1
	s_or_b32 exec_lo, exec_lo, s86
.LBB0_13630:                            ;   in Loop: Header=BB0_7082 Depth=1
	s_and_not1_saveexec_b32 s85, s85
; %bb.13631:                            ;   in Loop: Header=BB0_7082 Depth=1
	s_delay_alu instid0(VALU_DEP_1)
	v_or_b32_e32 v8, 0x3400, v8
; %bb.13632:                            ;   in Loop: Header=BB0_7082 Depth=1
	s_or_b32 exec_lo, exec_lo, s85
.LBB0_13633:                            ;   in Loop: Header=BB0_7082 Depth=1
	s_and_not1_saveexec_b32 s84, s84
; %bb.13634:                            ;   in Loop: Header=BB0_7082 Depth=1
	s_delay_alu instid0(VALU_DEP_1)
	v_or_b32_e32 v8, 0x3800, v8
; %bb.13635:                            ;   in Loop: Header=BB0_7082 Depth=1
	s_or_b32 exec_lo, exec_lo, s84
.LBB0_13636:                            ;   in Loop: Header=BB0_7082 Depth=1
	s_and_not1_saveexec_b32 s83, s83
; %bb.13637:                            ;   in Loop: Header=BB0_7082 Depth=1
	s_delay_alu instid0(VALU_DEP_1)
	v_or_b32_e32 v8, 0x3c00, v8
; %bb.13638:                            ;   in Loop: Header=BB0_7082 Depth=1
	s_or_b32 exec_lo, exec_lo, s83
.LBB0_13639:                            ;   in Loop: Header=BB0_7082 Depth=1
	s_and_not1_saveexec_b32 s82, s82
; %bb.13640:                            ;   in Loop: Header=BB0_7082 Depth=1
	s_delay_alu instid0(VALU_DEP_1)
	v_or_b32_e32 v8, 0x4000, v8
; %bb.13641:                            ;   in Loop: Header=BB0_7082 Depth=1
	s_or_b32 exec_lo, exec_lo, s82
.LBB0_13642:                            ;   in Loop: Header=BB0_7082 Depth=1
	s_and_not1_saveexec_b32 s81, s81
; %bb.13643:                            ;   in Loop: Header=BB0_7082 Depth=1
	s_delay_alu instid0(VALU_DEP_1)
	v_or_b32_e32 v8, 0x4400, v8
; %bb.13644:                            ;   in Loop: Header=BB0_7082 Depth=1
	s_or_b32 exec_lo, exec_lo, s81
.LBB0_13645:                            ;   in Loop: Header=BB0_7082 Depth=1
	s_and_not1_saveexec_b32 s80, s80
; %bb.13646:                            ;   in Loop: Header=BB0_7082 Depth=1
	s_delay_alu instid0(VALU_DEP_1)
	v_or_b32_e32 v8, 0x4800, v8
; %bb.13647:                            ;   in Loop: Header=BB0_7082 Depth=1
	s_or_b32 exec_lo, exec_lo, s80
.LBB0_13648:                            ;   in Loop: Header=BB0_7082 Depth=1
	s_and_not1_saveexec_b32 s79, s79
; %bb.13649:                            ;   in Loop: Header=BB0_7082 Depth=1
	s_delay_alu instid0(VALU_DEP_1)
	v_or_b32_e32 v8, 0x4c00, v8
; %bb.13650:                            ;   in Loop: Header=BB0_7082 Depth=1
	s_or_b32 exec_lo, exec_lo, s79
.LBB0_13651:                            ;   in Loop: Header=BB0_7082 Depth=1
	s_and_not1_saveexec_b32 s78, s78
; %bb.13652:                            ;   in Loop: Header=BB0_7082 Depth=1
	s_delay_alu instid0(VALU_DEP_1)
	v_or_b32_e32 v8, 0x5000, v8
; %bb.13653:                            ;   in Loop: Header=BB0_7082 Depth=1
	s_or_b32 exec_lo, exec_lo, s78
.LBB0_13654:                            ;   in Loop: Header=BB0_7082 Depth=1
	s_and_not1_saveexec_b32 s77, s77
; %bb.13655:                            ;   in Loop: Header=BB0_7082 Depth=1
	s_delay_alu instid0(VALU_DEP_1)
	v_or_b32_e32 v8, 0x5400, v8
; %bb.13656:                            ;   in Loop: Header=BB0_7082 Depth=1
	s_or_b32 exec_lo, exec_lo, s77
.LBB0_13657:                            ;   in Loop: Header=BB0_7082 Depth=1
	s_and_not1_saveexec_b32 s76, s76
; %bb.13658:                            ;   in Loop: Header=BB0_7082 Depth=1
	s_delay_alu instid0(VALU_DEP_1)
	v_or_b32_e32 v8, 0x5800, v8
; %bb.13659:                            ;   in Loop: Header=BB0_7082 Depth=1
	s_or_b32 exec_lo, exec_lo, s76
.LBB0_13660:                            ;   in Loop: Header=BB0_7082 Depth=1
	s_and_not1_saveexec_b32 s75, s75
; %bb.13661:                            ;   in Loop: Header=BB0_7082 Depth=1
	s_delay_alu instid0(VALU_DEP_1)
	v_or_b32_e32 v8, 0x5c00, v8
; %bb.13662:                            ;   in Loop: Header=BB0_7082 Depth=1
	s_or_b32 exec_lo, exec_lo, s75
.LBB0_13663:                            ;   in Loop: Header=BB0_7082 Depth=1
	s_and_not1_saveexec_b32 s74, s74
; %bb.13664:                            ;   in Loop: Header=BB0_7082 Depth=1
	s_delay_alu instid0(VALU_DEP_1)
	v_or_b32_e32 v8, 0x6000, v8
; %bb.13665:                            ;   in Loop: Header=BB0_7082 Depth=1
	s_or_b32 exec_lo, exec_lo, s74
.LBB0_13666:                            ;   in Loop: Header=BB0_7082 Depth=1
	s_and_not1_saveexec_b32 s73, s73
; %bb.13667:                            ;   in Loop: Header=BB0_7082 Depth=1
	s_delay_alu instid0(VALU_DEP_1)
	v_or_b32_e32 v8, 0x6400, v8
; %bb.13668:                            ;   in Loop: Header=BB0_7082 Depth=1
	s_or_b32 exec_lo, exec_lo, s73
.LBB0_13669:                            ;   in Loop: Header=BB0_7082 Depth=1
	s_and_not1_saveexec_b32 s72, s72
; %bb.13670:                            ;   in Loop: Header=BB0_7082 Depth=1
	s_delay_alu instid0(VALU_DEP_1)
	v_or_b32_e32 v8, 0x6800, v8
; %bb.13671:                            ;   in Loop: Header=BB0_7082 Depth=1
	s_or_b32 exec_lo, exec_lo, s72
.LBB0_13672:                            ;   in Loop: Header=BB0_7082 Depth=1
	s_and_not1_saveexec_b32 s71, s71
; %bb.13673:                            ;   in Loop: Header=BB0_7082 Depth=1
	s_delay_alu instid0(VALU_DEP_1)
	v_or_b32_e32 v8, 0x6c00, v8
; %bb.13674:                            ;   in Loop: Header=BB0_7082 Depth=1
	s_or_b32 exec_lo, exec_lo, s71
.LBB0_13675:                            ;   in Loop: Header=BB0_7082 Depth=1
	s_and_not1_saveexec_b32 s70, s70
; %bb.13676:                            ;   in Loop: Header=BB0_7082 Depth=1
	s_delay_alu instid0(VALU_DEP_1)
	v_or_b32_e32 v8, 0x7000, v8
; %bb.13677:                            ;   in Loop: Header=BB0_7082 Depth=1
	s_or_b32 exec_lo, exec_lo, s70
.LBB0_13678:                            ;   in Loop: Header=BB0_7082 Depth=1
	s_and_not1_saveexec_b32 s69, s69
; %bb.13679:                            ;   in Loop: Header=BB0_7082 Depth=1
	s_delay_alu instid0(VALU_DEP_1)
	v_or_b32_e32 v8, 0x7400, v8
; %bb.13680:                            ;   in Loop: Header=BB0_7082 Depth=1
	s_or_b32 exec_lo, exec_lo, s69
.LBB0_13681:                            ;   in Loop: Header=BB0_7082 Depth=1
	s_and_not1_saveexec_b32 s68, s68
; %bb.13682:                            ;   in Loop: Header=BB0_7082 Depth=1
	s_delay_alu instid0(VALU_DEP_1)
	v_or_b32_e32 v8, 0x7800, v8
; %bb.13683:                            ;   in Loop: Header=BB0_7082 Depth=1
	s_or_b32 exec_lo, exec_lo, s68
.LBB0_13684:                            ;   in Loop: Header=BB0_7082 Depth=1
	s_and_not1_saveexec_b32 s63, s63
; %bb.13685:                            ;   in Loop: Header=BB0_7082 Depth=1
	s_delay_alu instid0(VALU_DEP_1)
	v_or_b32_e32 v8, 0x7c00, v8
; %bb.13686:                            ;   in Loop: Header=BB0_7082 Depth=1
	s_or_b32 exec_lo, exec_lo, s63
	v_mov_b32_e32 v0, s62
	s_mov_b32 s63, exec_lo
	ds_load_2addr_b64 v[12:15], v0 offset0:186 offset1:187
	ds_load_b64 v[16:17], v0 offset:1504
	s_wait_dscnt 0x1
	v_mul_f64_e32 v[0:1], v[4:5], v[14:15]
	s_delay_alu instid0(VALU_DEP_1) | instskip(SKIP_1) | instid1(VALU_DEP_1)
	v_fmac_f64_e32 v[0:1], v[2:3], v[12:13]
	s_wait_dscnt 0x0
	v_fmac_f64_e32 v[0:1], v[6:7], v[16:17]
	s_delay_alu instid0(VALU_DEP_1)
	v_cmpx_ngt_f64_e32 s[60:61], v[0:1]
	s_xor_b32 s63, exec_lo, s63
	s_cbranch_execz .LBB0_13806
; %bb.13687:                            ;   in Loop: Header=BB0_7082 Depth=1
	s_mov_b32 s68, exec_lo
	v_cmpx_ngt_f64_e32 s[66:67], v[0:1]
	s_xor_b32 s68, exec_lo, s68
	s_cbranch_execz .LBB0_13803
; %bb.13688:                            ;   in Loop: Header=BB0_7082 Depth=1
	s_mov_b32 s69, exec_lo
	;; [unrolled: 5-line block ×30, first 2 shown]
	v_cmpx_gt_f64_e32 s[36:37], v[0:1]
; %bb.13717:                            ;   in Loop: Header=BB0_7082 Depth=1
	v_add_nc_u32_e32 v8, 0x40000, v8
; %bb.13718:                            ;   in Loop: Header=BB0_7082 Depth=1
	s_or_b32 exec_lo, exec_lo, s97
.LBB0_13719:                            ;   in Loop: Header=BB0_7082 Depth=1
	s_and_not1_saveexec_b32 s96, s96
; %bb.13720:                            ;   in Loop: Header=BB0_7082 Depth=1
	s_delay_alu instid0(VALU_DEP_1)
	v_add_nc_u32_e32 v8, 0x80000, v8
; %bb.13721:                            ;   in Loop: Header=BB0_7082 Depth=1
	s_or_b32 exec_lo, exec_lo, s96
.LBB0_13722:                            ;   in Loop: Header=BB0_7082 Depth=1
	s_and_not1_saveexec_b32 s95, s95
; %bb.13723:                            ;   in Loop: Header=BB0_7082 Depth=1
	s_delay_alu instid0(VALU_DEP_1)
	v_add_nc_u32_e32 v8, 0xc0000, v8
; %bb.13724:                            ;   in Loop: Header=BB0_7082 Depth=1
	s_or_b32 exec_lo, exec_lo, s95
.LBB0_13725:                            ;   in Loop: Header=BB0_7082 Depth=1
	s_and_not1_saveexec_b32 s94, s94
; %bb.13726:                            ;   in Loop: Header=BB0_7082 Depth=1
	s_delay_alu instid0(VALU_DEP_1)
	v_add_nc_u32_e32 v8, 0x100000, v8
; %bb.13727:                            ;   in Loop: Header=BB0_7082 Depth=1
	s_or_b32 exec_lo, exec_lo, s94
.LBB0_13728:                            ;   in Loop: Header=BB0_7082 Depth=1
	s_and_not1_saveexec_b32 s93, s93
; %bb.13729:                            ;   in Loop: Header=BB0_7082 Depth=1
	s_delay_alu instid0(VALU_DEP_1)
	v_add_nc_u32_e32 v8, 0x140000, v8
; %bb.13730:                            ;   in Loop: Header=BB0_7082 Depth=1
	s_or_b32 exec_lo, exec_lo, s93
.LBB0_13731:                            ;   in Loop: Header=BB0_7082 Depth=1
	s_and_not1_saveexec_b32 s92, s92
; %bb.13732:                            ;   in Loop: Header=BB0_7082 Depth=1
	s_delay_alu instid0(VALU_DEP_1)
	v_add_nc_u32_e32 v8, 0x180000, v8
; %bb.13733:                            ;   in Loop: Header=BB0_7082 Depth=1
	s_or_b32 exec_lo, exec_lo, s92
.LBB0_13734:                            ;   in Loop: Header=BB0_7082 Depth=1
	s_and_not1_saveexec_b32 s91, s91
; %bb.13735:                            ;   in Loop: Header=BB0_7082 Depth=1
	s_delay_alu instid0(VALU_DEP_1)
	v_add_nc_u32_e32 v8, 0x1c0000, v8
; %bb.13736:                            ;   in Loop: Header=BB0_7082 Depth=1
	s_or_b32 exec_lo, exec_lo, s91
.LBB0_13737:                            ;   in Loop: Header=BB0_7082 Depth=1
	s_and_not1_saveexec_b32 s90, s90
; %bb.13738:                            ;   in Loop: Header=BB0_7082 Depth=1
	s_delay_alu instid0(VALU_DEP_1)
	v_add_nc_u32_e32 v8, 0x200000, v8
; %bb.13739:                            ;   in Loop: Header=BB0_7082 Depth=1
	s_or_b32 exec_lo, exec_lo, s90
.LBB0_13740:                            ;   in Loop: Header=BB0_7082 Depth=1
	s_and_not1_saveexec_b32 s89, s89
; %bb.13741:                            ;   in Loop: Header=BB0_7082 Depth=1
	s_delay_alu instid0(VALU_DEP_1)
	v_add_nc_u32_e32 v8, 0x240000, v8
; %bb.13742:                            ;   in Loop: Header=BB0_7082 Depth=1
	s_or_b32 exec_lo, exec_lo, s89
.LBB0_13743:                            ;   in Loop: Header=BB0_7082 Depth=1
	s_and_not1_saveexec_b32 s88, s88
; %bb.13744:                            ;   in Loop: Header=BB0_7082 Depth=1
	s_delay_alu instid0(VALU_DEP_1)
	v_add_nc_u32_e32 v8, 0x280000, v8
; %bb.13745:                            ;   in Loop: Header=BB0_7082 Depth=1
	s_or_b32 exec_lo, exec_lo, s88
.LBB0_13746:                            ;   in Loop: Header=BB0_7082 Depth=1
	s_and_not1_saveexec_b32 s87, s87
; %bb.13747:                            ;   in Loop: Header=BB0_7082 Depth=1
	s_delay_alu instid0(VALU_DEP_1)
	v_add_nc_u32_e32 v8, 0x2c0000, v8
; %bb.13748:                            ;   in Loop: Header=BB0_7082 Depth=1
	s_or_b32 exec_lo, exec_lo, s87
.LBB0_13749:                            ;   in Loop: Header=BB0_7082 Depth=1
	s_and_not1_saveexec_b32 s86, s86
; %bb.13750:                            ;   in Loop: Header=BB0_7082 Depth=1
	s_delay_alu instid0(VALU_DEP_1)
	v_add_nc_u32_e32 v8, 0x300000, v8
; %bb.13751:                            ;   in Loop: Header=BB0_7082 Depth=1
	s_or_b32 exec_lo, exec_lo, s86
.LBB0_13752:                            ;   in Loop: Header=BB0_7082 Depth=1
	s_and_not1_saveexec_b32 s85, s85
; %bb.13753:                            ;   in Loop: Header=BB0_7082 Depth=1
	s_delay_alu instid0(VALU_DEP_1)
	v_add_nc_u32_e32 v8, 0x340000, v8
; %bb.13754:                            ;   in Loop: Header=BB0_7082 Depth=1
	s_or_b32 exec_lo, exec_lo, s85
.LBB0_13755:                            ;   in Loop: Header=BB0_7082 Depth=1
	s_and_not1_saveexec_b32 s84, s84
; %bb.13756:                            ;   in Loop: Header=BB0_7082 Depth=1
	s_delay_alu instid0(VALU_DEP_1)
	v_add_nc_u32_e32 v8, 0x380000, v8
; %bb.13757:                            ;   in Loop: Header=BB0_7082 Depth=1
	s_or_b32 exec_lo, exec_lo, s84
.LBB0_13758:                            ;   in Loop: Header=BB0_7082 Depth=1
	s_and_not1_saveexec_b32 s83, s83
; %bb.13759:                            ;   in Loop: Header=BB0_7082 Depth=1
	s_delay_alu instid0(VALU_DEP_1)
	v_add_nc_u32_e32 v8, 0x3c0000, v8
; %bb.13760:                            ;   in Loop: Header=BB0_7082 Depth=1
	s_or_b32 exec_lo, exec_lo, s83
.LBB0_13761:                            ;   in Loop: Header=BB0_7082 Depth=1
	s_and_not1_saveexec_b32 s82, s82
; %bb.13762:                            ;   in Loop: Header=BB0_7082 Depth=1
	s_delay_alu instid0(VALU_DEP_1)
	v_add_nc_u32_e32 v8, 0x400000, v8
; %bb.13763:                            ;   in Loop: Header=BB0_7082 Depth=1
	s_or_b32 exec_lo, exec_lo, s82
.LBB0_13764:                            ;   in Loop: Header=BB0_7082 Depth=1
	s_and_not1_saveexec_b32 s81, s81
; %bb.13765:                            ;   in Loop: Header=BB0_7082 Depth=1
	s_delay_alu instid0(VALU_DEP_1)
	v_add_nc_u32_e32 v8, 0x440000, v8
; %bb.13766:                            ;   in Loop: Header=BB0_7082 Depth=1
	s_or_b32 exec_lo, exec_lo, s81
.LBB0_13767:                            ;   in Loop: Header=BB0_7082 Depth=1
	s_and_not1_saveexec_b32 s80, s80
; %bb.13768:                            ;   in Loop: Header=BB0_7082 Depth=1
	s_delay_alu instid0(VALU_DEP_1)
	v_add_nc_u32_e32 v8, 0x480000, v8
; %bb.13769:                            ;   in Loop: Header=BB0_7082 Depth=1
	s_or_b32 exec_lo, exec_lo, s80
.LBB0_13770:                            ;   in Loop: Header=BB0_7082 Depth=1
	s_and_not1_saveexec_b32 s79, s79
; %bb.13771:                            ;   in Loop: Header=BB0_7082 Depth=1
	s_delay_alu instid0(VALU_DEP_1)
	v_add_nc_u32_e32 v8, 0x4c0000, v8
; %bb.13772:                            ;   in Loop: Header=BB0_7082 Depth=1
	s_or_b32 exec_lo, exec_lo, s79
.LBB0_13773:                            ;   in Loop: Header=BB0_7082 Depth=1
	s_and_not1_saveexec_b32 s78, s78
; %bb.13774:                            ;   in Loop: Header=BB0_7082 Depth=1
	s_delay_alu instid0(VALU_DEP_1)
	v_add_nc_u32_e32 v8, 0x500000, v8
; %bb.13775:                            ;   in Loop: Header=BB0_7082 Depth=1
	s_or_b32 exec_lo, exec_lo, s78
.LBB0_13776:                            ;   in Loop: Header=BB0_7082 Depth=1
	s_and_not1_saveexec_b32 s77, s77
; %bb.13777:                            ;   in Loop: Header=BB0_7082 Depth=1
	s_delay_alu instid0(VALU_DEP_1)
	v_add_nc_u32_e32 v8, 0x540000, v8
; %bb.13778:                            ;   in Loop: Header=BB0_7082 Depth=1
	s_or_b32 exec_lo, exec_lo, s77
.LBB0_13779:                            ;   in Loop: Header=BB0_7082 Depth=1
	s_and_not1_saveexec_b32 s76, s76
; %bb.13780:                            ;   in Loop: Header=BB0_7082 Depth=1
	s_delay_alu instid0(VALU_DEP_1)
	v_add_nc_u32_e32 v8, 0x580000, v8
; %bb.13781:                            ;   in Loop: Header=BB0_7082 Depth=1
	s_or_b32 exec_lo, exec_lo, s76
.LBB0_13782:                            ;   in Loop: Header=BB0_7082 Depth=1
	s_and_not1_saveexec_b32 s75, s75
; %bb.13783:                            ;   in Loop: Header=BB0_7082 Depth=1
	s_delay_alu instid0(VALU_DEP_1)
	v_add_nc_u32_e32 v8, 0x5c0000, v8
; %bb.13784:                            ;   in Loop: Header=BB0_7082 Depth=1
	s_or_b32 exec_lo, exec_lo, s75
.LBB0_13785:                            ;   in Loop: Header=BB0_7082 Depth=1
	s_and_not1_saveexec_b32 s74, s74
; %bb.13786:                            ;   in Loop: Header=BB0_7082 Depth=1
	s_delay_alu instid0(VALU_DEP_1)
	v_add_nc_u32_e32 v8, 0x600000, v8
; %bb.13787:                            ;   in Loop: Header=BB0_7082 Depth=1
	s_or_b32 exec_lo, exec_lo, s74
.LBB0_13788:                            ;   in Loop: Header=BB0_7082 Depth=1
	s_and_not1_saveexec_b32 s73, s73
; %bb.13789:                            ;   in Loop: Header=BB0_7082 Depth=1
	s_delay_alu instid0(VALU_DEP_1)
	v_add_nc_u32_e32 v8, 0x640000, v8
; %bb.13790:                            ;   in Loop: Header=BB0_7082 Depth=1
	s_or_b32 exec_lo, exec_lo, s73
.LBB0_13791:                            ;   in Loop: Header=BB0_7082 Depth=1
	s_and_not1_saveexec_b32 s72, s72
; %bb.13792:                            ;   in Loop: Header=BB0_7082 Depth=1
	s_delay_alu instid0(VALU_DEP_1)
	v_add_nc_u32_e32 v8, 0x680000, v8
; %bb.13793:                            ;   in Loop: Header=BB0_7082 Depth=1
	s_or_b32 exec_lo, exec_lo, s72
.LBB0_13794:                            ;   in Loop: Header=BB0_7082 Depth=1
	s_and_not1_saveexec_b32 s71, s71
; %bb.13795:                            ;   in Loop: Header=BB0_7082 Depth=1
	s_delay_alu instid0(VALU_DEP_1)
	v_add_nc_u32_e32 v8, 0x6c0000, v8
; %bb.13796:                            ;   in Loop: Header=BB0_7082 Depth=1
	s_or_b32 exec_lo, exec_lo, s71
.LBB0_13797:                            ;   in Loop: Header=BB0_7082 Depth=1
	s_and_not1_saveexec_b32 s70, s70
; %bb.13798:                            ;   in Loop: Header=BB0_7082 Depth=1
	s_delay_alu instid0(VALU_DEP_1)
	v_add_nc_u32_e32 v8, 0x700000, v8
; %bb.13799:                            ;   in Loop: Header=BB0_7082 Depth=1
	s_or_b32 exec_lo, exec_lo, s70
.LBB0_13800:                            ;   in Loop: Header=BB0_7082 Depth=1
	s_and_not1_saveexec_b32 s69, s69
; %bb.13801:                            ;   in Loop: Header=BB0_7082 Depth=1
	s_delay_alu instid0(VALU_DEP_1)
	v_add_nc_u32_e32 v8, 0x740000, v8
; %bb.13802:                            ;   in Loop: Header=BB0_7082 Depth=1
	s_or_b32 exec_lo, exec_lo, s69
.LBB0_13803:                            ;   in Loop: Header=BB0_7082 Depth=1
	s_and_not1_saveexec_b32 s68, s68
; %bb.13804:                            ;   in Loop: Header=BB0_7082 Depth=1
	s_delay_alu instid0(VALU_DEP_1)
	v_add_nc_u32_e32 v8, 0x780000, v8
; %bb.13805:                            ;   in Loop: Header=BB0_7082 Depth=1
	s_or_b32 exec_lo, exec_lo, s68
.LBB0_13806:                            ;   in Loop: Header=BB0_7082 Depth=1
	s_and_not1_saveexec_b32 s63, s63
; %bb.13807:                            ;   in Loop: Header=BB0_7082 Depth=1
	s_delay_alu instid0(VALU_DEP_1)
	v_add_nc_u32_e32 v8, 0x7c0000, v8
; %bb.13808:                            ;   in Loop: Header=BB0_7082 Depth=1
	s_or_b32 exec_lo, exec_lo, s63
	v_mov_b32_e32 v0, s62
	s_mov_b32 s62, exec_lo
	ds_load_2addr_b64 v[12:15], v0 offset0:189 offset1:190
	ds_load_b64 v[16:17], v0 offset:1528
	s_wait_dscnt 0x1
	v_mul_f64_e32 v[0:1], v[4:5], v[14:15]
	s_delay_alu instid0(VALU_DEP_1) | instskip(SKIP_1) | instid1(VALU_DEP_1)
	v_fmac_f64_e32 v[0:1], v[2:3], v[12:13]
	s_wait_dscnt 0x0
	v_fmac_f64_e32 v[0:1], v[6:7], v[16:17]
	s_delay_alu instid0(VALU_DEP_1)
	v_cmpx_ngt_f64_e32 s[60:61], v[0:1]
	s_xor_b32 s62, exec_lo, s62
	s_cbranch_execz .LBB0_13928
; %bb.13809:                            ;   in Loop: Header=BB0_7082 Depth=1
	s_mov_b32 s63, exec_lo
	v_cmpx_ngt_f64_e32 s[66:67], v[0:1]
	s_xor_b32 s63, exec_lo, s63
	s_cbranch_execz .LBB0_13925
; %bb.13810:                            ;   in Loop: Header=BB0_7082 Depth=1
	s_mov_b32 s68, exec_lo
	;; [unrolled: 5-line block ×30, first 2 shown]
	v_cmpx_gt_f64_e32 s[36:37], v[0:1]
; %bb.13839:                            ;   in Loop: Header=BB0_7082 Depth=1
	v_add_nc_u32_e32 v8, 0x4000000, v8
; %bb.13840:                            ;   in Loop: Header=BB0_7082 Depth=1
	s_or_b32 exec_lo, exec_lo, s96
.LBB0_13841:                            ;   in Loop: Header=BB0_7082 Depth=1
	s_and_not1_saveexec_b32 s95, s95
; %bb.13842:                            ;   in Loop: Header=BB0_7082 Depth=1
	s_delay_alu instid0(VALU_DEP_1)
	v_add_nc_u32_e32 v8, 0x8000000, v8
; %bb.13843:                            ;   in Loop: Header=BB0_7082 Depth=1
	s_or_b32 exec_lo, exec_lo, s95
.LBB0_13844:                            ;   in Loop: Header=BB0_7082 Depth=1
	s_and_not1_saveexec_b32 s94, s94
; %bb.13845:                            ;   in Loop: Header=BB0_7082 Depth=1
	s_delay_alu instid0(VALU_DEP_1)
	v_add_nc_u32_e32 v8, 0xc000000, v8
; %bb.13846:                            ;   in Loop: Header=BB0_7082 Depth=1
	s_or_b32 exec_lo, exec_lo, s94
.LBB0_13847:                            ;   in Loop: Header=BB0_7082 Depth=1
	s_and_not1_saveexec_b32 s93, s93
; %bb.13848:                            ;   in Loop: Header=BB0_7082 Depth=1
	s_delay_alu instid0(VALU_DEP_1)
	v_add_nc_u32_e32 v8, 0x10000000, v8
; %bb.13849:                            ;   in Loop: Header=BB0_7082 Depth=1
	s_or_b32 exec_lo, exec_lo, s93
.LBB0_13850:                            ;   in Loop: Header=BB0_7082 Depth=1
	s_and_not1_saveexec_b32 s92, s92
; %bb.13851:                            ;   in Loop: Header=BB0_7082 Depth=1
	s_delay_alu instid0(VALU_DEP_1)
	v_add_nc_u32_e32 v8, 0x14000000, v8
; %bb.13852:                            ;   in Loop: Header=BB0_7082 Depth=1
	s_or_b32 exec_lo, exec_lo, s92
.LBB0_13853:                            ;   in Loop: Header=BB0_7082 Depth=1
	s_and_not1_saveexec_b32 s91, s91
; %bb.13854:                            ;   in Loop: Header=BB0_7082 Depth=1
	s_delay_alu instid0(VALU_DEP_1)
	v_add_nc_u32_e32 v8, 0x18000000, v8
; %bb.13855:                            ;   in Loop: Header=BB0_7082 Depth=1
	s_or_b32 exec_lo, exec_lo, s91
.LBB0_13856:                            ;   in Loop: Header=BB0_7082 Depth=1
	s_and_not1_saveexec_b32 s90, s90
; %bb.13857:                            ;   in Loop: Header=BB0_7082 Depth=1
	s_delay_alu instid0(VALU_DEP_1)
	v_add_nc_u32_e32 v8, 0x1c000000, v8
; %bb.13858:                            ;   in Loop: Header=BB0_7082 Depth=1
	s_or_b32 exec_lo, exec_lo, s90
.LBB0_13859:                            ;   in Loop: Header=BB0_7082 Depth=1
	s_and_not1_saveexec_b32 s89, s89
; %bb.13860:                            ;   in Loop: Header=BB0_7082 Depth=1
	s_delay_alu instid0(VALU_DEP_1)
	v_add_nc_u32_e32 v8, 0x20000000, v8
; %bb.13861:                            ;   in Loop: Header=BB0_7082 Depth=1
	s_or_b32 exec_lo, exec_lo, s89
.LBB0_13862:                            ;   in Loop: Header=BB0_7082 Depth=1
	s_and_not1_saveexec_b32 s88, s88
; %bb.13863:                            ;   in Loop: Header=BB0_7082 Depth=1
	s_delay_alu instid0(VALU_DEP_1)
	v_add_nc_u32_e32 v8, 0x24000000, v8
; %bb.13864:                            ;   in Loop: Header=BB0_7082 Depth=1
	s_or_b32 exec_lo, exec_lo, s88
.LBB0_13865:                            ;   in Loop: Header=BB0_7082 Depth=1
	s_and_not1_saveexec_b32 s87, s87
; %bb.13866:                            ;   in Loop: Header=BB0_7082 Depth=1
	s_delay_alu instid0(VALU_DEP_1)
	v_add_nc_u32_e32 v8, 0x28000000, v8
; %bb.13867:                            ;   in Loop: Header=BB0_7082 Depth=1
	s_or_b32 exec_lo, exec_lo, s87
.LBB0_13868:                            ;   in Loop: Header=BB0_7082 Depth=1
	s_and_not1_saveexec_b32 s86, s86
; %bb.13869:                            ;   in Loop: Header=BB0_7082 Depth=1
	s_delay_alu instid0(VALU_DEP_1)
	v_add_nc_u32_e32 v8, 0x2c000000, v8
; %bb.13870:                            ;   in Loop: Header=BB0_7082 Depth=1
	s_or_b32 exec_lo, exec_lo, s86
.LBB0_13871:                            ;   in Loop: Header=BB0_7082 Depth=1
	s_and_not1_saveexec_b32 s85, s85
; %bb.13872:                            ;   in Loop: Header=BB0_7082 Depth=1
	s_delay_alu instid0(VALU_DEP_1)
	v_add_nc_u32_e32 v8, 0x30000000, v8
; %bb.13873:                            ;   in Loop: Header=BB0_7082 Depth=1
	s_or_b32 exec_lo, exec_lo, s85
.LBB0_13874:                            ;   in Loop: Header=BB0_7082 Depth=1
	s_and_not1_saveexec_b32 s84, s84
; %bb.13875:                            ;   in Loop: Header=BB0_7082 Depth=1
	s_delay_alu instid0(VALU_DEP_1)
	v_add_nc_u32_e32 v8, 0x34000000, v8
; %bb.13876:                            ;   in Loop: Header=BB0_7082 Depth=1
	s_or_b32 exec_lo, exec_lo, s84
.LBB0_13877:                            ;   in Loop: Header=BB0_7082 Depth=1
	s_and_not1_saveexec_b32 s83, s83
; %bb.13878:                            ;   in Loop: Header=BB0_7082 Depth=1
	s_delay_alu instid0(VALU_DEP_1)
	v_add_nc_u32_e32 v8, 0x38000000, v8
; %bb.13879:                            ;   in Loop: Header=BB0_7082 Depth=1
	s_or_b32 exec_lo, exec_lo, s83
.LBB0_13880:                            ;   in Loop: Header=BB0_7082 Depth=1
	s_and_not1_saveexec_b32 s82, s82
; %bb.13881:                            ;   in Loop: Header=BB0_7082 Depth=1
	s_delay_alu instid0(VALU_DEP_1)
	v_add_nc_u32_e32 v8, 0x3c000000, v8
; %bb.13882:                            ;   in Loop: Header=BB0_7082 Depth=1
	s_or_b32 exec_lo, exec_lo, s82
.LBB0_13883:                            ;   in Loop: Header=BB0_7082 Depth=1
	s_and_not1_saveexec_b32 s81, s81
; %bb.13884:                            ;   in Loop: Header=BB0_7082 Depth=1
	s_delay_alu instid0(VALU_DEP_1)
	v_add_nc_u32_e32 v8, 2.0, v8
; %bb.13885:                            ;   in Loop: Header=BB0_7082 Depth=1
	s_or_b32 exec_lo, exec_lo, s81
.LBB0_13886:                            ;   in Loop: Header=BB0_7082 Depth=1
	s_and_not1_saveexec_b32 s80, s80
; %bb.13887:                            ;   in Loop: Header=BB0_7082 Depth=1
	s_delay_alu instid0(VALU_DEP_1)
	v_add_nc_u32_e32 v8, 0x44000000, v8
; %bb.13888:                            ;   in Loop: Header=BB0_7082 Depth=1
	s_or_b32 exec_lo, exec_lo, s80
.LBB0_13889:                            ;   in Loop: Header=BB0_7082 Depth=1
	s_and_not1_saveexec_b32 s79, s79
; %bb.13890:                            ;   in Loop: Header=BB0_7082 Depth=1
	s_delay_alu instid0(VALU_DEP_1)
	v_add_nc_u32_e32 v8, 0x48000000, v8
; %bb.13891:                            ;   in Loop: Header=BB0_7082 Depth=1
	s_or_b32 exec_lo, exec_lo, s79
.LBB0_13892:                            ;   in Loop: Header=BB0_7082 Depth=1
	s_and_not1_saveexec_b32 s78, s78
; %bb.13893:                            ;   in Loop: Header=BB0_7082 Depth=1
	s_delay_alu instid0(VALU_DEP_1)
	v_add_nc_u32_e32 v8, 0x4c000000, v8
; %bb.13894:                            ;   in Loop: Header=BB0_7082 Depth=1
	s_or_b32 exec_lo, exec_lo, s78
.LBB0_13895:                            ;   in Loop: Header=BB0_7082 Depth=1
	s_and_not1_saveexec_b32 s77, s77
; %bb.13896:                            ;   in Loop: Header=BB0_7082 Depth=1
	s_delay_alu instid0(VALU_DEP_1)
	v_add_nc_u32_e32 v8, 0x50000000, v8
; %bb.13897:                            ;   in Loop: Header=BB0_7082 Depth=1
	s_or_b32 exec_lo, exec_lo, s77
.LBB0_13898:                            ;   in Loop: Header=BB0_7082 Depth=1
	s_and_not1_saveexec_b32 s76, s76
; %bb.13899:                            ;   in Loop: Header=BB0_7082 Depth=1
	s_delay_alu instid0(VALU_DEP_1)
	v_add_nc_u32_e32 v8, 0x54000000, v8
; %bb.13900:                            ;   in Loop: Header=BB0_7082 Depth=1
	s_or_b32 exec_lo, exec_lo, s76
.LBB0_13901:                            ;   in Loop: Header=BB0_7082 Depth=1
	s_and_not1_saveexec_b32 s75, s75
; %bb.13902:                            ;   in Loop: Header=BB0_7082 Depth=1
	s_delay_alu instid0(VALU_DEP_1)
	v_add_nc_u32_e32 v8, 0x58000000, v8
; %bb.13903:                            ;   in Loop: Header=BB0_7082 Depth=1
	s_or_b32 exec_lo, exec_lo, s75
.LBB0_13904:                            ;   in Loop: Header=BB0_7082 Depth=1
	s_and_not1_saveexec_b32 s74, s74
; %bb.13905:                            ;   in Loop: Header=BB0_7082 Depth=1
	s_delay_alu instid0(VALU_DEP_1)
	v_add_nc_u32_e32 v8, 0x5c000000, v8
; %bb.13906:                            ;   in Loop: Header=BB0_7082 Depth=1
	s_or_b32 exec_lo, exec_lo, s74
.LBB0_13907:                            ;   in Loop: Header=BB0_7082 Depth=1
	s_and_not1_saveexec_b32 s73, s73
; %bb.13908:                            ;   in Loop: Header=BB0_7082 Depth=1
	s_delay_alu instid0(VALU_DEP_1)
	v_add_nc_u32_e32 v8, 0x60000000, v8
; %bb.13909:                            ;   in Loop: Header=BB0_7082 Depth=1
	s_or_b32 exec_lo, exec_lo, s73
.LBB0_13910:                            ;   in Loop: Header=BB0_7082 Depth=1
	s_and_not1_saveexec_b32 s72, s72
; %bb.13911:                            ;   in Loop: Header=BB0_7082 Depth=1
	s_delay_alu instid0(VALU_DEP_1)
	v_add_nc_u32_e32 v8, 0x64000000, v8
; %bb.13912:                            ;   in Loop: Header=BB0_7082 Depth=1
	s_or_b32 exec_lo, exec_lo, s72
.LBB0_13913:                            ;   in Loop: Header=BB0_7082 Depth=1
	s_and_not1_saveexec_b32 s71, s71
; %bb.13914:                            ;   in Loop: Header=BB0_7082 Depth=1
	s_delay_alu instid0(VALU_DEP_1)
	v_add_nc_u32_e32 v8, 0x68000000, v8
; %bb.13915:                            ;   in Loop: Header=BB0_7082 Depth=1
	s_or_b32 exec_lo, exec_lo, s71
.LBB0_13916:                            ;   in Loop: Header=BB0_7082 Depth=1
	s_and_not1_saveexec_b32 s70, s70
; %bb.13917:                            ;   in Loop: Header=BB0_7082 Depth=1
	s_delay_alu instid0(VALU_DEP_1)
	v_add_nc_u32_e32 v8, 0x6c000000, v8
; %bb.13918:                            ;   in Loop: Header=BB0_7082 Depth=1
	s_or_b32 exec_lo, exec_lo, s70
.LBB0_13919:                            ;   in Loop: Header=BB0_7082 Depth=1
	s_and_not1_saveexec_b32 s69, s69
; %bb.13920:                            ;   in Loop: Header=BB0_7082 Depth=1
	s_delay_alu instid0(VALU_DEP_1)
	v_add_nc_u32_e32 v8, 0x70000000, v8
; %bb.13921:                            ;   in Loop: Header=BB0_7082 Depth=1
	s_or_b32 exec_lo, exec_lo, s69
.LBB0_13922:                            ;   in Loop: Header=BB0_7082 Depth=1
	s_and_not1_saveexec_b32 s68, s68
; %bb.13923:                            ;   in Loop: Header=BB0_7082 Depth=1
	s_delay_alu instid0(VALU_DEP_1)
	v_add_nc_u32_e32 v8, 0x74000000, v8
; %bb.13924:                            ;   in Loop: Header=BB0_7082 Depth=1
	s_or_b32 exec_lo, exec_lo, s68
.LBB0_13925:                            ;   in Loop: Header=BB0_7082 Depth=1
	s_and_not1_saveexec_b32 s63, s63
; %bb.13926:                            ;   in Loop: Header=BB0_7082 Depth=1
	s_delay_alu instid0(VALU_DEP_1)
	v_add_nc_u32_e32 v8, 0x78000000, v8
; %bb.13927:                            ;   in Loop: Header=BB0_7082 Depth=1
	s_or_b32 exec_lo, exec_lo, s63
.LBB0_13928:                            ;   in Loop: Header=BB0_7082 Depth=1
	s_and_not1_saveexec_b32 s62, s62
	s_cbranch_execz .LBB0_7081
; %bb.13929:                            ;   in Loop: Header=BB0_7082 Depth=1
	s_delay_alu instid0(VALU_DEP_1)
	v_add_nc_u32_e32 v8, 0x7c000000, v8
	s_branch .LBB0_7081
.LBB0_13930:
	s_cbranch_execz .LBB0_13931
; %bb.13934:
	s_add_pc_i64 .LBB0_2-.Lpost_addpc1
.Lpost_addpc1:
.LBB0_13931:
	s_wait_xcnt 0x0
	v_mov_b32_e32 v0, 0x7c7c7c7c
	s_wait_kmcnt 0x0
	s_clause 0x1f
	global_store_b32 v10, v0, s[34:35] scale_offset
	global_store_b32 v10, v0, s[34:35] offset:65536 scale_offset
	global_store_b32 v10, v0, s[34:35] offset:131072 scale_offset
	;; [unrolled: 1-line block ×31, first 2 shown]
	s_endpgm
	.section	.rodata,"a",@progbits
	.p2align	6, 0x0
	.amdhsa_kernel _Z13ACFKernelSymm9cartesianPj
		.amdhsa_group_segment_fixed_size 0
		.amdhsa_private_segment_fixed_size 0
		.amdhsa_kernarg_size 40
		.amdhsa_user_sgpr_count 2
		.amdhsa_user_sgpr_dispatch_ptr 0
		.amdhsa_user_sgpr_queue_ptr 0
		.amdhsa_user_sgpr_kernarg_segment_ptr 1
		.amdhsa_user_sgpr_dispatch_id 0
		.amdhsa_user_sgpr_kernarg_preload_length 0
		.amdhsa_user_sgpr_kernarg_preload_offset 0
		.amdhsa_user_sgpr_private_segment_size 0
		.amdhsa_wavefront_size32 1
		.amdhsa_uses_dynamic_stack 0
		.amdhsa_enable_private_segment 0
		.amdhsa_system_sgpr_workgroup_id_x 1
		.amdhsa_system_sgpr_workgroup_id_y 1
		.amdhsa_system_sgpr_workgroup_id_z 0
		.amdhsa_system_sgpr_workgroup_info 0
		.amdhsa_system_vgpr_workitem_id 0
		.amdhsa_next_free_vgpr 19
		.amdhsa_next_free_sgpr 105
		.amdhsa_named_barrier_count 0
		.amdhsa_reserve_vcc 1
		.amdhsa_float_round_mode_32 0
		.amdhsa_float_round_mode_16_64 0
		.amdhsa_float_denorm_mode_32 3
		.amdhsa_float_denorm_mode_16_64 3
		.amdhsa_fp16_overflow 0
		.amdhsa_memory_ordered 1
		.amdhsa_forward_progress 1
		.amdhsa_inst_pref_size 255
		.amdhsa_round_robin_scheduling 0
		.amdhsa_exception_fp_ieee_invalid_op 0
		.amdhsa_exception_fp_denorm_src 0
		.amdhsa_exception_fp_ieee_div_zero 0
		.amdhsa_exception_fp_ieee_overflow 0
		.amdhsa_exception_fp_ieee_underflow 0
		.amdhsa_exception_fp_ieee_inexact 0
		.amdhsa_exception_int_div_zero 0
	.end_amdhsa_kernel
	.text
.Lfunc_end0:
	.size	_Z13ACFKernelSymm9cartesianPj, .Lfunc_end0-_Z13ACFKernelSymm9cartesianPj
                                        ; -- End function
	.set _Z13ACFKernelSymm9cartesianPj.num_vgpr, 19
	.set _Z13ACFKernelSymm9cartesianPj.num_agpr, 0
	.set _Z13ACFKernelSymm9cartesianPj.numbered_sgpr, 105
	.set _Z13ACFKernelSymm9cartesianPj.num_named_barrier, 0
	.set _Z13ACFKernelSymm9cartesianPj.private_seg_size, 0
	.set _Z13ACFKernelSymm9cartesianPj.uses_vcc, 1
	.set _Z13ACFKernelSymm9cartesianPj.uses_flat_scratch, 0
	.set _Z13ACFKernelSymm9cartesianPj.has_dyn_sized_stack, 0
	.set _Z13ACFKernelSymm9cartesianPj.has_recursion, 0
	.set _Z13ACFKernelSymm9cartesianPj.has_indirect_call, 0
	.section	.AMDGPU.csdata,"",@progbits
; Kernel info:
; codeLenInByte = 153468
; TotalNumSgprs: 107
; NumVgprs: 19
; ScratchSize: 0
; MemoryBound: 0
; FloatMode: 240
; IeeeMode: 1
; LDSByteSize: 0 bytes/workgroup (compile time only)
; SGPRBlocks: 0
; VGPRBlocks: 1
; NumSGPRsForWavesPerEU: 107
; NumVGPRsForWavesPerEU: 19
; NamedBarCnt: 0
; Occupancy: 16
; WaveLimiterHint : 1
; COMPUTE_PGM_RSRC2:SCRATCH_EN: 0
; COMPUTE_PGM_RSRC2:USER_SGPR: 2
; COMPUTE_PGM_RSRC2:TRAP_HANDLER: 0
; COMPUTE_PGM_RSRC2:TGID_X_EN: 1
; COMPUTE_PGM_RSRC2:TGID_Y_EN: 1
; COMPUTE_PGM_RSRC2:TGID_Z_EN: 0
; COMPUTE_PGM_RSRC2:TIDIG_COMP_CNT: 0
	.text
	.protected	_Z9ACFKernel9cartesianS_Pj ; -- Begin function _Z9ACFKernel9cartesianS_Pj
	.globl	_Z9ACFKernel9cartesianS_Pj
	.p2align	8
	.type	_Z9ACFKernel9cartesianS_Pj,@function
_Z9ACFKernel9cartesianS_Pj:             ; @_Z9ACFKernel9cartesianS_Pj
; %bb.0:
	s_clause 0x3
	s_load_b128 s[8:11], s[0:1], 0x0
	s_load_b64 s[2:3], s[0:1], 0x10
	s_load_b128 s[4:7], s[0:1], 0x20
	s_load_b64 s[12:13], s[0:1], 0x30
	s_bfe_u32 s14, ttmp6, 0x4000c
	s_bfe_u32 s16, ttmp6, 0x40010
	s_add_co_i32 s14, s14, 1
	s_and_b32 s15, ttmp6, 15
	s_mul_i32 s14, ttmp9, s14
	s_add_co_i32 s16, s16, 1
	s_add_co_i32 s15, s15, s14
	s_mul_i32 s14, ttmp7, s16
	s_bfe_u32 s16, ttmp6, 0x40004
	s_getreg_b32 s17, hwreg(HW_REG_IB_STS2, 6, 4)
	s_add_co_i32 s16, s16, s14
	s_cmp_eq_u32 s17, 0
	s_get_pc_i64 s[34:35]
	s_add_nc_u64 s[34:35], s[34:35], binbounds@rel64+244
	s_cselect_b32 s33, ttmp7, s16
	s_cselect_b32 s14, ttmp9, s15
	v_lshl_add_u32 v1, s33, 7, v0
	v_lshl_add_u32 v8, s14, 7, v0
	s_get_pc_i64 s[36:37]
	s_add_nc_u64 s[36:37], s[36:37], binbounds@rel64+228
	s_get_pc_i64 s[38:39]
	s_add_nc_u64 s[38:39], s[38:39], binbounds@rel64+196
	s_wait_kmcnt 0x0
	s_clause 0x2
	global_load_b64 v[10:11], v1, s[8:9] scale_offset
	global_load_b64 v[12:13], v1, s[10:11] scale_offset
	;; [unrolled: 1-line block ×3, first 2 shown]
	s_clause 0x2
	global_load_b64 v[2:3], v8, s[4:5] scale_offset
	global_load_b64 v[4:5], v8, s[6:7] scale_offset
	;; [unrolled: 1-line block ×3, first 2 shown]
	s_get_pc_i64 s[72:73]
	s_add_nc_u64 s[72:73], s[72:73], binbounds@rel64+4
	s_get_pc_i64 s[40:41]
	s_add_nc_u64 s[40:41], s[40:41], binbounds@rel64+132
	;; [unrolled: 2-line block ×3, first 2 shown]
	s_wait_xcnt 0x3
	s_load_b64 s[2:3], s[0:1], 0x40
	s_clause 0x3
	s_load_b128 s[28:31], s[34:35], 0x0
	s_load_b128 s[68:71], s[36:37], 0x0
	s_load_b256 s[20:27], s[38:39], 0x0
	s_load_b512 s[4:19], s[40:41], 0x0
                                        ; kill: killed $sgpr38_sgpr39
                                        ; kill: killed $sgpr0_sgpr1
                                        ; kill: killed $sgpr40_sgpr41
                                        ; kill: killed $sgpr36_sgpr37
                                        ; kill: killed $sgpr34_sgpr35
	s_wait_xcnt 0x0
	s_load_b512 s[36:51], s[52:53], 0x0
	s_wait_xcnt 0x0
	s_load_b512 s[52:67], s[72:73], 0x0
	v_mad_u32_u24 v0, v0, 24, 0
	v_lshl_add_u32 v8, s33, 19, v8
	s_mov_b32 s0, 0
	s_wait_loadcnt 0x4
	ds_store_2addr_b64 v0, v[10:11], v[12:13] offset1:1
	s_wait_loadcnt 0x3
	ds_store_b64 v0, v[14:15] offset:16
	s_wait_loadcnt_dscnt 0x0
	s_barrier_signal -1
	s_barrier_wait -1
	s_branch .LBB1_2
.LBB1_1:                                ;   in Loop: Header=BB1_2 Depth=1
	s_or_b32 exec_lo, exec_lo, s1
	s_or_b32 s1, s0, 60
	s_add_co_i32 s0, s0, 64
	v_lshl_add_u32 v0, s1, 12, v8
	s_cmp_gt_u32 s1, 0x7b
	global_store_b32 v0, v9, s[2:3] scale_offset
	s_cbranch_scc1 .LBB1_6850
.LBB1_2:                                ; =>This Inner Loop Header: Depth=1
	s_mul_i32 s1, s0, 24
	s_wait_kmcnt 0x0
	s_mov_b32 s30, exec_lo
	s_add_co_i32 s1, s1, 0
	s_wait_xcnt 0x0
	v_mov_b32_e32 v0, s1
	ds_load_2addr_b64 v[10:13], v0 offset1:1
	ds_load_b64 v[14:15], v0 offset:16
	s_wait_dscnt 0x1
	v_mul_f64_e32 v[0:1], v[4:5], v[12:13]
	s_delay_alu instid0(VALU_DEP_1) | instskip(SKIP_2) | instid1(VALU_DEP_2)
	v_fmac_f64_e32 v[0:1], v[2:3], v[10:11]
	v_mov_b32_e32 v10, 0x7c
	s_wait_dscnt 0x0
	v_fmac_f64_e32 v[0:1], v[6:7], v[14:15]
	s_delay_alu instid0(VALU_DEP_1)
	v_cmpx_ngt_f64_e32 s[28:29], v[0:1]
	s_cbranch_execz .LBB1_64
; %bb.3:                                ;   in Loop: Header=BB1_2 Depth=1
	v_mov_b32_e32 v10, 0x78
	s_mov_b32 s31, exec_lo
	v_cmpx_ngt_f64_e32 s[70:71], v[0:1]
	s_cbranch_execz .LBB1_63
; %bb.4:                                ;   in Loop: Header=BB1_2 Depth=1
	v_mov_b32_e32 v10, 0x74
	s_mov_b32 s33, exec_lo
	;; [unrolled: 5-line block ×7, first 2 shown]
	v_cmpx_ngt_f64_e32 s[18:19], v[0:1]
	s_cbranch_execz .LBB1_57
; %bb.10:                               ;   in Loop: Header=BB1_2 Depth=1
	v_mov_b32_e32 v10, 0x5c
	s_mov_b32 s75, exec_lo
	v_cmpx_ngt_f64_e32 s[16:17], v[0:1]
	s_cbranch_execz .LBB1_56
; %bb.11:                               ;   in Loop: Header=BB1_2 Depth=1
	v_mov_b32_e32 v10, 0x58
	s_mov_b32 s76, exec_lo
	;; [unrolled: 5-line block ×23, first 2 shown]
	v_cmpx_gt_f64_e32 s[52:53], v[0:1]
; %bb.33:                               ;   in Loop: Header=BB1_2 Depth=1
	v_mov_b32_e32 v10, 4
; %bb.34:                               ;   in Loop: Header=BB1_2 Depth=1
	s_or_b32 exec_lo, exec_lo, s97
.LBB1_35:                               ;   in Loop: Header=BB1_2 Depth=1
	s_delay_alu instid0(SALU_CYCLE_1)
	s_or_b32 exec_lo, exec_lo, s96
.LBB1_36:                               ;   in Loop: Header=BB1_2 Depth=1
	s_delay_alu instid0(SALU_CYCLE_1)
	s_or_b32 exec_lo, exec_lo, s95
.LBB1_37:                               ;   in Loop: Header=BB1_2 Depth=1
	s_delay_alu instid0(SALU_CYCLE_1)
	s_or_b32 exec_lo, exec_lo, s94
.LBB1_38:                               ;   in Loop: Header=BB1_2 Depth=1
	s_delay_alu instid0(SALU_CYCLE_1)
	s_or_b32 exec_lo, exec_lo, s93
.LBB1_39:                               ;   in Loop: Header=BB1_2 Depth=1
	s_delay_alu instid0(SALU_CYCLE_1)
	s_or_b32 exec_lo, exec_lo, s92
.LBB1_40:                               ;   in Loop: Header=BB1_2 Depth=1
	s_delay_alu instid0(SALU_CYCLE_1)
	s_or_b32 exec_lo, exec_lo, s91
.LBB1_41:                               ;   in Loop: Header=BB1_2 Depth=1
	s_delay_alu instid0(SALU_CYCLE_1)
	s_or_b32 exec_lo, exec_lo, s90
.LBB1_42:                               ;   in Loop: Header=BB1_2 Depth=1
	s_delay_alu instid0(SALU_CYCLE_1)
	s_or_b32 exec_lo, exec_lo, s89
.LBB1_43:                               ;   in Loop: Header=BB1_2 Depth=1
	s_delay_alu instid0(SALU_CYCLE_1)
	s_or_b32 exec_lo, exec_lo, s88
.LBB1_44:                               ;   in Loop: Header=BB1_2 Depth=1
	s_delay_alu instid0(SALU_CYCLE_1)
	s_or_b32 exec_lo, exec_lo, s87
.LBB1_45:                               ;   in Loop: Header=BB1_2 Depth=1
	s_delay_alu instid0(SALU_CYCLE_1)
	s_or_b32 exec_lo, exec_lo, s86
.LBB1_46:                               ;   in Loop: Header=BB1_2 Depth=1
	s_delay_alu instid0(SALU_CYCLE_1)
	s_or_b32 exec_lo, exec_lo, s85
.LBB1_47:                               ;   in Loop: Header=BB1_2 Depth=1
	s_delay_alu instid0(SALU_CYCLE_1)
	s_or_b32 exec_lo, exec_lo, s84
.LBB1_48:                               ;   in Loop: Header=BB1_2 Depth=1
	s_delay_alu instid0(SALU_CYCLE_1)
	s_or_b32 exec_lo, exec_lo, s83
.LBB1_49:                               ;   in Loop: Header=BB1_2 Depth=1
	s_delay_alu instid0(SALU_CYCLE_1)
	s_or_b32 exec_lo, exec_lo, s82
.LBB1_50:                               ;   in Loop: Header=BB1_2 Depth=1
	s_delay_alu instid0(SALU_CYCLE_1)
	s_or_b32 exec_lo, exec_lo, s81
.LBB1_51:                               ;   in Loop: Header=BB1_2 Depth=1
	s_delay_alu instid0(SALU_CYCLE_1)
	s_or_b32 exec_lo, exec_lo, s80
.LBB1_52:                               ;   in Loop: Header=BB1_2 Depth=1
	s_delay_alu instid0(SALU_CYCLE_1)
	s_or_b32 exec_lo, exec_lo, s79
.LBB1_53:                               ;   in Loop: Header=BB1_2 Depth=1
	s_delay_alu instid0(SALU_CYCLE_1)
	s_or_b32 exec_lo, exec_lo, s78
.LBB1_54:                               ;   in Loop: Header=BB1_2 Depth=1
	s_delay_alu instid0(SALU_CYCLE_1)
	s_or_b32 exec_lo, exec_lo, s77
.LBB1_55:                               ;   in Loop: Header=BB1_2 Depth=1
	s_delay_alu instid0(SALU_CYCLE_1)
	s_or_b32 exec_lo, exec_lo, s76
.LBB1_56:                               ;   in Loop: Header=BB1_2 Depth=1
	s_delay_alu instid0(SALU_CYCLE_1)
	s_or_b32 exec_lo, exec_lo, s75
.LBB1_57:                               ;   in Loop: Header=BB1_2 Depth=1
	s_delay_alu instid0(SALU_CYCLE_1)
	s_or_b32 exec_lo, exec_lo, s74
.LBB1_58:                               ;   in Loop: Header=BB1_2 Depth=1
	s_delay_alu instid0(SALU_CYCLE_1)
	s_or_b32 exec_lo, exec_lo, s73
.LBB1_59:                               ;   in Loop: Header=BB1_2 Depth=1
	s_delay_alu instid0(SALU_CYCLE_1)
	s_or_b32 exec_lo, exec_lo, s72
.LBB1_60:                               ;   in Loop: Header=BB1_2 Depth=1
	s_delay_alu instid0(SALU_CYCLE_1)
	s_or_b32 exec_lo, exec_lo, s35
.LBB1_61:                               ;   in Loop: Header=BB1_2 Depth=1
	s_delay_alu instid0(SALU_CYCLE_1)
	s_or_b32 exec_lo, exec_lo, s34
.LBB1_62:                               ;   in Loop: Header=BB1_2 Depth=1
	s_delay_alu instid0(SALU_CYCLE_1)
	s_or_b32 exec_lo, exec_lo, s33
.LBB1_63:                               ;   in Loop: Header=BB1_2 Depth=1
	s_delay_alu instid0(SALU_CYCLE_1)
	s_or_b32 exec_lo, exec_lo, s31
.LBB1_64:                               ;   in Loop: Header=BB1_2 Depth=1
	s_delay_alu instid0(SALU_CYCLE_1)
	s_or_b32 exec_lo, exec_lo, s30
	v_mov_b32_e32 v0, s1
	s_mov_b32 s30, exec_lo
	ds_load_2addr_b64 v[12:15], v0 offset0:3 offset1:4
	ds_load_b64 v[16:17], v0 offset:40
	s_wait_dscnt 0x1
	v_mul_f64_e32 v[0:1], v[4:5], v[14:15]
	s_delay_alu instid0(VALU_DEP_1) | instskip(SKIP_1) | instid1(VALU_DEP_1)
	v_fmac_f64_e32 v[0:1], v[2:3], v[12:13]
	s_wait_dscnt 0x0
	v_fmac_f64_e32 v[0:1], v[6:7], v[16:17]
	s_delay_alu instid0(VALU_DEP_1)
	v_cmpx_ngt_f64_e32 s[28:29], v[0:1]
	s_xor_b32 s30, exec_lo, s30
	s_cbranch_execz .LBB1_184
; %bb.65:                               ;   in Loop: Header=BB1_2 Depth=1
	s_mov_b32 s31, exec_lo
	v_cmpx_ngt_f64_e32 s[70:71], v[0:1]
	s_xor_b32 s31, exec_lo, s31
	s_cbranch_execz .LBB1_181
; %bb.66:                               ;   in Loop: Header=BB1_2 Depth=1
	s_mov_b32 s33, exec_lo
	;; [unrolled: 5-line block ×30, first 2 shown]
	v_cmpx_gt_f64_e32 s[52:53], v[0:1]
; %bb.95:                               ;   in Loop: Header=BB1_2 Depth=1
	v_or_b32_e32 v10, 0x400, v10
; %bb.96:                               ;   in Loop: Header=BB1_2 Depth=1
	s_or_b32 exec_lo, exec_lo, s97
.LBB1_97:                               ;   in Loop: Header=BB1_2 Depth=1
	s_and_not1_saveexec_b32 s96, s96
; %bb.98:                               ;   in Loop: Header=BB1_2 Depth=1
	s_delay_alu instid0(VALU_DEP_1)
	v_or_b32_e32 v10, 0x800, v10
; %bb.99:                               ;   in Loop: Header=BB1_2 Depth=1
	s_or_b32 exec_lo, exec_lo, s96
.LBB1_100:                              ;   in Loop: Header=BB1_2 Depth=1
	s_and_not1_saveexec_b32 s95, s95
; %bb.101:                              ;   in Loop: Header=BB1_2 Depth=1
	s_delay_alu instid0(VALU_DEP_1)
	v_or_b32_e32 v10, 0xc00, v10
; %bb.102:                              ;   in Loop: Header=BB1_2 Depth=1
	s_or_b32 exec_lo, exec_lo, s95
.LBB1_103:                              ;   in Loop: Header=BB1_2 Depth=1
	s_and_not1_saveexec_b32 s94, s94
; %bb.104:                              ;   in Loop: Header=BB1_2 Depth=1
	s_delay_alu instid0(VALU_DEP_1)
	v_or_b32_e32 v10, 0x1000, v10
; %bb.105:                              ;   in Loop: Header=BB1_2 Depth=1
	s_or_b32 exec_lo, exec_lo, s94
.LBB1_106:                              ;   in Loop: Header=BB1_2 Depth=1
	s_and_not1_saveexec_b32 s93, s93
; %bb.107:                              ;   in Loop: Header=BB1_2 Depth=1
	s_delay_alu instid0(VALU_DEP_1)
	v_or_b32_e32 v10, 0x1400, v10
; %bb.108:                              ;   in Loop: Header=BB1_2 Depth=1
	s_or_b32 exec_lo, exec_lo, s93
.LBB1_109:                              ;   in Loop: Header=BB1_2 Depth=1
	s_and_not1_saveexec_b32 s92, s92
; %bb.110:                              ;   in Loop: Header=BB1_2 Depth=1
	s_delay_alu instid0(VALU_DEP_1)
	v_or_b32_e32 v10, 0x1800, v10
; %bb.111:                              ;   in Loop: Header=BB1_2 Depth=1
	s_or_b32 exec_lo, exec_lo, s92
.LBB1_112:                              ;   in Loop: Header=BB1_2 Depth=1
	s_and_not1_saveexec_b32 s91, s91
; %bb.113:                              ;   in Loop: Header=BB1_2 Depth=1
	s_delay_alu instid0(VALU_DEP_1)
	v_or_b32_e32 v10, 0x1c00, v10
; %bb.114:                              ;   in Loop: Header=BB1_2 Depth=1
	s_or_b32 exec_lo, exec_lo, s91
.LBB1_115:                              ;   in Loop: Header=BB1_2 Depth=1
	s_and_not1_saveexec_b32 s90, s90
; %bb.116:                              ;   in Loop: Header=BB1_2 Depth=1
	s_delay_alu instid0(VALU_DEP_1)
	v_or_b32_e32 v10, 0x2000, v10
; %bb.117:                              ;   in Loop: Header=BB1_2 Depth=1
	s_or_b32 exec_lo, exec_lo, s90
.LBB1_118:                              ;   in Loop: Header=BB1_2 Depth=1
	s_and_not1_saveexec_b32 s89, s89
; %bb.119:                              ;   in Loop: Header=BB1_2 Depth=1
	s_delay_alu instid0(VALU_DEP_1)
	v_or_b32_e32 v10, 0x2400, v10
; %bb.120:                              ;   in Loop: Header=BB1_2 Depth=1
	s_or_b32 exec_lo, exec_lo, s89
.LBB1_121:                              ;   in Loop: Header=BB1_2 Depth=1
	s_and_not1_saveexec_b32 s88, s88
; %bb.122:                              ;   in Loop: Header=BB1_2 Depth=1
	s_delay_alu instid0(VALU_DEP_1)
	v_or_b32_e32 v10, 0x2800, v10
; %bb.123:                              ;   in Loop: Header=BB1_2 Depth=1
	s_or_b32 exec_lo, exec_lo, s88
.LBB1_124:                              ;   in Loop: Header=BB1_2 Depth=1
	s_and_not1_saveexec_b32 s87, s87
; %bb.125:                              ;   in Loop: Header=BB1_2 Depth=1
	s_delay_alu instid0(VALU_DEP_1)
	v_or_b32_e32 v10, 0x2c00, v10
; %bb.126:                              ;   in Loop: Header=BB1_2 Depth=1
	s_or_b32 exec_lo, exec_lo, s87
.LBB1_127:                              ;   in Loop: Header=BB1_2 Depth=1
	s_and_not1_saveexec_b32 s86, s86
; %bb.128:                              ;   in Loop: Header=BB1_2 Depth=1
	s_delay_alu instid0(VALU_DEP_1)
	v_or_b32_e32 v10, 0x3000, v10
; %bb.129:                              ;   in Loop: Header=BB1_2 Depth=1
	s_or_b32 exec_lo, exec_lo, s86
.LBB1_130:                              ;   in Loop: Header=BB1_2 Depth=1
	s_and_not1_saveexec_b32 s85, s85
; %bb.131:                              ;   in Loop: Header=BB1_2 Depth=1
	s_delay_alu instid0(VALU_DEP_1)
	v_or_b32_e32 v10, 0x3400, v10
; %bb.132:                              ;   in Loop: Header=BB1_2 Depth=1
	s_or_b32 exec_lo, exec_lo, s85
.LBB1_133:                              ;   in Loop: Header=BB1_2 Depth=1
	s_and_not1_saveexec_b32 s84, s84
; %bb.134:                              ;   in Loop: Header=BB1_2 Depth=1
	s_delay_alu instid0(VALU_DEP_1)
	v_or_b32_e32 v10, 0x3800, v10
; %bb.135:                              ;   in Loop: Header=BB1_2 Depth=1
	s_or_b32 exec_lo, exec_lo, s84
.LBB1_136:                              ;   in Loop: Header=BB1_2 Depth=1
	s_and_not1_saveexec_b32 s83, s83
; %bb.137:                              ;   in Loop: Header=BB1_2 Depth=1
	s_delay_alu instid0(VALU_DEP_1)
	v_or_b32_e32 v10, 0x3c00, v10
; %bb.138:                              ;   in Loop: Header=BB1_2 Depth=1
	s_or_b32 exec_lo, exec_lo, s83
.LBB1_139:                              ;   in Loop: Header=BB1_2 Depth=1
	s_and_not1_saveexec_b32 s82, s82
; %bb.140:                              ;   in Loop: Header=BB1_2 Depth=1
	s_delay_alu instid0(VALU_DEP_1)
	v_or_b32_e32 v10, 0x4000, v10
; %bb.141:                              ;   in Loop: Header=BB1_2 Depth=1
	s_or_b32 exec_lo, exec_lo, s82
.LBB1_142:                              ;   in Loop: Header=BB1_2 Depth=1
	s_and_not1_saveexec_b32 s81, s81
; %bb.143:                              ;   in Loop: Header=BB1_2 Depth=1
	s_delay_alu instid0(VALU_DEP_1)
	v_or_b32_e32 v10, 0x4400, v10
; %bb.144:                              ;   in Loop: Header=BB1_2 Depth=1
	s_or_b32 exec_lo, exec_lo, s81
.LBB1_145:                              ;   in Loop: Header=BB1_2 Depth=1
	s_and_not1_saveexec_b32 s80, s80
; %bb.146:                              ;   in Loop: Header=BB1_2 Depth=1
	s_delay_alu instid0(VALU_DEP_1)
	v_or_b32_e32 v10, 0x4800, v10
; %bb.147:                              ;   in Loop: Header=BB1_2 Depth=1
	s_or_b32 exec_lo, exec_lo, s80
.LBB1_148:                              ;   in Loop: Header=BB1_2 Depth=1
	s_and_not1_saveexec_b32 s79, s79
; %bb.149:                              ;   in Loop: Header=BB1_2 Depth=1
	s_delay_alu instid0(VALU_DEP_1)
	v_or_b32_e32 v10, 0x4c00, v10
; %bb.150:                              ;   in Loop: Header=BB1_2 Depth=1
	s_or_b32 exec_lo, exec_lo, s79
.LBB1_151:                              ;   in Loop: Header=BB1_2 Depth=1
	s_and_not1_saveexec_b32 s78, s78
; %bb.152:                              ;   in Loop: Header=BB1_2 Depth=1
	s_delay_alu instid0(VALU_DEP_1)
	v_or_b32_e32 v10, 0x5000, v10
; %bb.153:                              ;   in Loop: Header=BB1_2 Depth=1
	s_or_b32 exec_lo, exec_lo, s78
.LBB1_154:                              ;   in Loop: Header=BB1_2 Depth=1
	s_and_not1_saveexec_b32 s77, s77
; %bb.155:                              ;   in Loop: Header=BB1_2 Depth=1
	s_delay_alu instid0(VALU_DEP_1)
	v_or_b32_e32 v10, 0x5400, v10
; %bb.156:                              ;   in Loop: Header=BB1_2 Depth=1
	s_or_b32 exec_lo, exec_lo, s77
.LBB1_157:                              ;   in Loop: Header=BB1_2 Depth=1
	s_and_not1_saveexec_b32 s76, s76
; %bb.158:                              ;   in Loop: Header=BB1_2 Depth=1
	s_delay_alu instid0(VALU_DEP_1)
	v_or_b32_e32 v10, 0x5800, v10
; %bb.159:                              ;   in Loop: Header=BB1_2 Depth=1
	s_or_b32 exec_lo, exec_lo, s76
.LBB1_160:                              ;   in Loop: Header=BB1_2 Depth=1
	s_and_not1_saveexec_b32 s75, s75
; %bb.161:                              ;   in Loop: Header=BB1_2 Depth=1
	s_delay_alu instid0(VALU_DEP_1)
	v_or_b32_e32 v10, 0x5c00, v10
; %bb.162:                              ;   in Loop: Header=BB1_2 Depth=1
	s_or_b32 exec_lo, exec_lo, s75
.LBB1_163:                              ;   in Loop: Header=BB1_2 Depth=1
	s_and_not1_saveexec_b32 s74, s74
; %bb.164:                              ;   in Loop: Header=BB1_2 Depth=1
	s_delay_alu instid0(VALU_DEP_1)
	v_or_b32_e32 v10, 0x6000, v10
; %bb.165:                              ;   in Loop: Header=BB1_2 Depth=1
	s_or_b32 exec_lo, exec_lo, s74
.LBB1_166:                              ;   in Loop: Header=BB1_2 Depth=1
	s_and_not1_saveexec_b32 s73, s73
; %bb.167:                              ;   in Loop: Header=BB1_2 Depth=1
	s_delay_alu instid0(VALU_DEP_1)
	v_or_b32_e32 v10, 0x6400, v10
; %bb.168:                              ;   in Loop: Header=BB1_2 Depth=1
	s_or_b32 exec_lo, exec_lo, s73
.LBB1_169:                              ;   in Loop: Header=BB1_2 Depth=1
	s_and_not1_saveexec_b32 s72, s72
; %bb.170:                              ;   in Loop: Header=BB1_2 Depth=1
	s_delay_alu instid0(VALU_DEP_1)
	v_or_b32_e32 v10, 0x6800, v10
; %bb.171:                              ;   in Loop: Header=BB1_2 Depth=1
	s_or_b32 exec_lo, exec_lo, s72
.LBB1_172:                              ;   in Loop: Header=BB1_2 Depth=1
	s_and_not1_saveexec_b32 s35, s35
; %bb.173:                              ;   in Loop: Header=BB1_2 Depth=1
	s_delay_alu instid0(VALU_DEP_1)
	v_or_b32_e32 v10, 0x6c00, v10
; %bb.174:                              ;   in Loop: Header=BB1_2 Depth=1
	s_or_b32 exec_lo, exec_lo, s35
.LBB1_175:                              ;   in Loop: Header=BB1_2 Depth=1
	s_and_not1_saveexec_b32 s34, s34
; %bb.176:                              ;   in Loop: Header=BB1_2 Depth=1
	s_delay_alu instid0(VALU_DEP_1)
	v_or_b32_e32 v10, 0x7000, v10
; %bb.177:                              ;   in Loop: Header=BB1_2 Depth=1
	s_or_b32 exec_lo, exec_lo, s34
.LBB1_178:                              ;   in Loop: Header=BB1_2 Depth=1
	s_and_not1_saveexec_b32 s33, s33
; %bb.179:                              ;   in Loop: Header=BB1_2 Depth=1
	s_delay_alu instid0(VALU_DEP_1)
	v_or_b32_e32 v10, 0x7400, v10
; %bb.180:                              ;   in Loop: Header=BB1_2 Depth=1
	s_or_b32 exec_lo, exec_lo, s33
.LBB1_181:                              ;   in Loop: Header=BB1_2 Depth=1
	s_and_not1_saveexec_b32 s31, s31
; %bb.182:                              ;   in Loop: Header=BB1_2 Depth=1
	s_delay_alu instid0(VALU_DEP_1)
	v_or_b32_e32 v10, 0x7800, v10
; %bb.183:                              ;   in Loop: Header=BB1_2 Depth=1
	s_or_b32 exec_lo, exec_lo, s31
.LBB1_184:                              ;   in Loop: Header=BB1_2 Depth=1
	s_and_not1_saveexec_b32 s30, s30
; %bb.185:                              ;   in Loop: Header=BB1_2 Depth=1
	s_delay_alu instid0(VALU_DEP_1)
	v_or_b32_e32 v10, 0x7c00, v10
; %bb.186:                              ;   in Loop: Header=BB1_2 Depth=1
	s_or_b32 exec_lo, exec_lo, s30
	v_mov_b32_e32 v0, s1
	s_mov_b32 s30, exec_lo
	ds_load_2addr_b64 v[12:15], v0 offset0:6 offset1:7
	ds_load_b64 v[16:17], v0 offset:64
	s_wait_dscnt 0x1
	v_mul_f64_e32 v[0:1], v[4:5], v[14:15]
	s_delay_alu instid0(VALU_DEP_1) | instskip(SKIP_1) | instid1(VALU_DEP_1)
	v_fmac_f64_e32 v[0:1], v[2:3], v[12:13]
	s_wait_dscnt 0x0
	v_fmac_f64_e32 v[0:1], v[6:7], v[16:17]
	s_delay_alu instid0(VALU_DEP_1)
	v_cmpx_ngt_f64_e32 s[28:29], v[0:1]
	s_xor_b32 s30, exec_lo, s30
	s_cbranch_execz .LBB1_306
; %bb.187:                              ;   in Loop: Header=BB1_2 Depth=1
	s_mov_b32 s31, exec_lo
	v_cmpx_ngt_f64_e32 s[70:71], v[0:1]
	s_xor_b32 s31, exec_lo, s31
	s_cbranch_execz .LBB1_303
; %bb.188:                              ;   in Loop: Header=BB1_2 Depth=1
	s_mov_b32 s33, exec_lo
	;; [unrolled: 5-line block ×30, first 2 shown]
	v_cmpx_gt_f64_e32 s[52:53], v[0:1]
; %bb.217:                              ;   in Loop: Header=BB1_2 Depth=1
	v_add_nc_u32_e32 v10, 0x40000, v10
; %bb.218:                              ;   in Loop: Header=BB1_2 Depth=1
	s_or_b32 exec_lo, exec_lo, s97
.LBB1_219:                              ;   in Loop: Header=BB1_2 Depth=1
	s_and_not1_saveexec_b32 s96, s96
; %bb.220:                              ;   in Loop: Header=BB1_2 Depth=1
	s_delay_alu instid0(VALU_DEP_1)
	v_add_nc_u32_e32 v10, 0x80000, v10
; %bb.221:                              ;   in Loop: Header=BB1_2 Depth=1
	s_or_b32 exec_lo, exec_lo, s96
.LBB1_222:                              ;   in Loop: Header=BB1_2 Depth=1
	s_and_not1_saveexec_b32 s95, s95
; %bb.223:                              ;   in Loop: Header=BB1_2 Depth=1
	s_delay_alu instid0(VALU_DEP_1)
	v_add_nc_u32_e32 v10, 0xc0000, v10
; %bb.224:                              ;   in Loop: Header=BB1_2 Depth=1
	s_or_b32 exec_lo, exec_lo, s95
.LBB1_225:                              ;   in Loop: Header=BB1_2 Depth=1
	s_and_not1_saveexec_b32 s94, s94
; %bb.226:                              ;   in Loop: Header=BB1_2 Depth=1
	s_delay_alu instid0(VALU_DEP_1)
	v_add_nc_u32_e32 v10, 0x100000, v10
; %bb.227:                              ;   in Loop: Header=BB1_2 Depth=1
	s_or_b32 exec_lo, exec_lo, s94
.LBB1_228:                              ;   in Loop: Header=BB1_2 Depth=1
	s_and_not1_saveexec_b32 s93, s93
; %bb.229:                              ;   in Loop: Header=BB1_2 Depth=1
	s_delay_alu instid0(VALU_DEP_1)
	v_add_nc_u32_e32 v10, 0x140000, v10
; %bb.230:                              ;   in Loop: Header=BB1_2 Depth=1
	s_or_b32 exec_lo, exec_lo, s93
.LBB1_231:                              ;   in Loop: Header=BB1_2 Depth=1
	s_and_not1_saveexec_b32 s92, s92
; %bb.232:                              ;   in Loop: Header=BB1_2 Depth=1
	s_delay_alu instid0(VALU_DEP_1)
	v_add_nc_u32_e32 v10, 0x180000, v10
; %bb.233:                              ;   in Loop: Header=BB1_2 Depth=1
	s_or_b32 exec_lo, exec_lo, s92
.LBB1_234:                              ;   in Loop: Header=BB1_2 Depth=1
	s_and_not1_saveexec_b32 s91, s91
; %bb.235:                              ;   in Loop: Header=BB1_2 Depth=1
	s_delay_alu instid0(VALU_DEP_1)
	v_add_nc_u32_e32 v10, 0x1c0000, v10
; %bb.236:                              ;   in Loop: Header=BB1_2 Depth=1
	s_or_b32 exec_lo, exec_lo, s91
.LBB1_237:                              ;   in Loop: Header=BB1_2 Depth=1
	s_and_not1_saveexec_b32 s90, s90
; %bb.238:                              ;   in Loop: Header=BB1_2 Depth=1
	s_delay_alu instid0(VALU_DEP_1)
	v_add_nc_u32_e32 v10, 0x200000, v10
; %bb.239:                              ;   in Loop: Header=BB1_2 Depth=1
	s_or_b32 exec_lo, exec_lo, s90
.LBB1_240:                              ;   in Loop: Header=BB1_2 Depth=1
	s_and_not1_saveexec_b32 s89, s89
; %bb.241:                              ;   in Loop: Header=BB1_2 Depth=1
	s_delay_alu instid0(VALU_DEP_1)
	v_add_nc_u32_e32 v10, 0x240000, v10
; %bb.242:                              ;   in Loop: Header=BB1_2 Depth=1
	s_or_b32 exec_lo, exec_lo, s89
.LBB1_243:                              ;   in Loop: Header=BB1_2 Depth=1
	s_and_not1_saveexec_b32 s88, s88
; %bb.244:                              ;   in Loop: Header=BB1_2 Depth=1
	s_delay_alu instid0(VALU_DEP_1)
	v_add_nc_u32_e32 v10, 0x280000, v10
; %bb.245:                              ;   in Loop: Header=BB1_2 Depth=1
	s_or_b32 exec_lo, exec_lo, s88
.LBB1_246:                              ;   in Loop: Header=BB1_2 Depth=1
	s_and_not1_saveexec_b32 s87, s87
; %bb.247:                              ;   in Loop: Header=BB1_2 Depth=1
	s_delay_alu instid0(VALU_DEP_1)
	v_add_nc_u32_e32 v10, 0x2c0000, v10
; %bb.248:                              ;   in Loop: Header=BB1_2 Depth=1
	s_or_b32 exec_lo, exec_lo, s87
.LBB1_249:                              ;   in Loop: Header=BB1_2 Depth=1
	s_and_not1_saveexec_b32 s86, s86
; %bb.250:                              ;   in Loop: Header=BB1_2 Depth=1
	s_delay_alu instid0(VALU_DEP_1)
	v_add_nc_u32_e32 v10, 0x300000, v10
; %bb.251:                              ;   in Loop: Header=BB1_2 Depth=1
	s_or_b32 exec_lo, exec_lo, s86
.LBB1_252:                              ;   in Loop: Header=BB1_2 Depth=1
	s_and_not1_saveexec_b32 s85, s85
; %bb.253:                              ;   in Loop: Header=BB1_2 Depth=1
	s_delay_alu instid0(VALU_DEP_1)
	v_add_nc_u32_e32 v10, 0x340000, v10
; %bb.254:                              ;   in Loop: Header=BB1_2 Depth=1
	s_or_b32 exec_lo, exec_lo, s85
.LBB1_255:                              ;   in Loop: Header=BB1_2 Depth=1
	s_and_not1_saveexec_b32 s84, s84
; %bb.256:                              ;   in Loop: Header=BB1_2 Depth=1
	s_delay_alu instid0(VALU_DEP_1)
	v_add_nc_u32_e32 v10, 0x380000, v10
; %bb.257:                              ;   in Loop: Header=BB1_2 Depth=1
	s_or_b32 exec_lo, exec_lo, s84
.LBB1_258:                              ;   in Loop: Header=BB1_2 Depth=1
	s_and_not1_saveexec_b32 s83, s83
; %bb.259:                              ;   in Loop: Header=BB1_2 Depth=1
	s_delay_alu instid0(VALU_DEP_1)
	v_add_nc_u32_e32 v10, 0x3c0000, v10
; %bb.260:                              ;   in Loop: Header=BB1_2 Depth=1
	s_or_b32 exec_lo, exec_lo, s83
.LBB1_261:                              ;   in Loop: Header=BB1_2 Depth=1
	s_and_not1_saveexec_b32 s82, s82
; %bb.262:                              ;   in Loop: Header=BB1_2 Depth=1
	s_delay_alu instid0(VALU_DEP_1)
	v_add_nc_u32_e32 v10, 0x400000, v10
; %bb.263:                              ;   in Loop: Header=BB1_2 Depth=1
	s_or_b32 exec_lo, exec_lo, s82
.LBB1_264:                              ;   in Loop: Header=BB1_2 Depth=1
	s_and_not1_saveexec_b32 s81, s81
; %bb.265:                              ;   in Loop: Header=BB1_2 Depth=1
	s_delay_alu instid0(VALU_DEP_1)
	v_add_nc_u32_e32 v10, 0x440000, v10
; %bb.266:                              ;   in Loop: Header=BB1_2 Depth=1
	s_or_b32 exec_lo, exec_lo, s81
.LBB1_267:                              ;   in Loop: Header=BB1_2 Depth=1
	s_and_not1_saveexec_b32 s80, s80
; %bb.268:                              ;   in Loop: Header=BB1_2 Depth=1
	s_delay_alu instid0(VALU_DEP_1)
	v_add_nc_u32_e32 v10, 0x480000, v10
; %bb.269:                              ;   in Loop: Header=BB1_2 Depth=1
	s_or_b32 exec_lo, exec_lo, s80
.LBB1_270:                              ;   in Loop: Header=BB1_2 Depth=1
	s_and_not1_saveexec_b32 s79, s79
; %bb.271:                              ;   in Loop: Header=BB1_2 Depth=1
	s_delay_alu instid0(VALU_DEP_1)
	v_add_nc_u32_e32 v10, 0x4c0000, v10
; %bb.272:                              ;   in Loop: Header=BB1_2 Depth=1
	s_or_b32 exec_lo, exec_lo, s79
.LBB1_273:                              ;   in Loop: Header=BB1_2 Depth=1
	s_and_not1_saveexec_b32 s78, s78
; %bb.274:                              ;   in Loop: Header=BB1_2 Depth=1
	s_delay_alu instid0(VALU_DEP_1)
	v_add_nc_u32_e32 v10, 0x500000, v10
; %bb.275:                              ;   in Loop: Header=BB1_2 Depth=1
	s_or_b32 exec_lo, exec_lo, s78
.LBB1_276:                              ;   in Loop: Header=BB1_2 Depth=1
	s_and_not1_saveexec_b32 s77, s77
; %bb.277:                              ;   in Loop: Header=BB1_2 Depth=1
	s_delay_alu instid0(VALU_DEP_1)
	v_add_nc_u32_e32 v10, 0x540000, v10
; %bb.278:                              ;   in Loop: Header=BB1_2 Depth=1
	s_or_b32 exec_lo, exec_lo, s77
.LBB1_279:                              ;   in Loop: Header=BB1_2 Depth=1
	s_and_not1_saveexec_b32 s76, s76
; %bb.280:                              ;   in Loop: Header=BB1_2 Depth=1
	s_delay_alu instid0(VALU_DEP_1)
	v_add_nc_u32_e32 v10, 0x580000, v10
; %bb.281:                              ;   in Loop: Header=BB1_2 Depth=1
	s_or_b32 exec_lo, exec_lo, s76
.LBB1_282:                              ;   in Loop: Header=BB1_2 Depth=1
	s_and_not1_saveexec_b32 s75, s75
; %bb.283:                              ;   in Loop: Header=BB1_2 Depth=1
	s_delay_alu instid0(VALU_DEP_1)
	v_add_nc_u32_e32 v10, 0x5c0000, v10
; %bb.284:                              ;   in Loop: Header=BB1_2 Depth=1
	s_or_b32 exec_lo, exec_lo, s75
.LBB1_285:                              ;   in Loop: Header=BB1_2 Depth=1
	s_and_not1_saveexec_b32 s74, s74
; %bb.286:                              ;   in Loop: Header=BB1_2 Depth=1
	s_delay_alu instid0(VALU_DEP_1)
	v_add_nc_u32_e32 v10, 0x600000, v10
; %bb.287:                              ;   in Loop: Header=BB1_2 Depth=1
	s_or_b32 exec_lo, exec_lo, s74
.LBB1_288:                              ;   in Loop: Header=BB1_2 Depth=1
	s_and_not1_saveexec_b32 s73, s73
; %bb.289:                              ;   in Loop: Header=BB1_2 Depth=1
	s_delay_alu instid0(VALU_DEP_1)
	v_add_nc_u32_e32 v10, 0x640000, v10
; %bb.290:                              ;   in Loop: Header=BB1_2 Depth=1
	s_or_b32 exec_lo, exec_lo, s73
.LBB1_291:                              ;   in Loop: Header=BB1_2 Depth=1
	s_and_not1_saveexec_b32 s72, s72
; %bb.292:                              ;   in Loop: Header=BB1_2 Depth=1
	s_delay_alu instid0(VALU_DEP_1)
	v_add_nc_u32_e32 v10, 0x680000, v10
; %bb.293:                              ;   in Loop: Header=BB1_2 Depth=1
	s_or_b32 exec_lo, exec_lo, s72
.LBB1_294:                              ;   in Loop: Header=BB1_2 Depth=1
	s_and_not1_saveexec_b32 s35, s35
; %bb.295:                              ;   in Loop: Header=BB1_2 Depth=1
	s_delay_alu instid0(VALU_DEP_1)
	v_add_nc_u32_e32 v10, 0x6c0000, v10
; %bb.296:                              ;   in Loop: Header=BB1_2 Depth=1
	s_or_b32 exec_lo, exec_lo, s35
.LBB1_297:                              ;   in Loop: Header=BB1_2 Depth=1
	s_and_not1_saveexec_b32 s34, s34
; %bb.298:                              ;   in Loop: Header=BB1_2 Depth=1
	s_delay_alu instid0(VALU_DEP_1)
	v_add_nc_u32_e32 v10, 0x700000, v10
; %bb.299:                              ;   in Loop: Header=BB1_2 Depth=1
	s_or_b32 exec_lo, exec_lo, s34
.LBB1_300:                              ;   in Loop: Header=BB1_2 Depth=1
	s_and_not1_saveexec_b32 s33, s33
; %bb.301:                              ;   in Loop: Header=BB1_2 Depth=1
	s_delay_alu instid0(VALU_DEP_1)
	v_add_nc_u32_e32 v10, 0x740000, v10
; %bb.302:                              ;   in Loop: Header=BB1_2 Depth=1
	s_or_b32 exec_lo, exec_lo, s33
.LBB1_303:                              ;   in Loop: Header=BB1_2 Depth=1
	s_and_not1_saveexec_b32 s31, s31
; %bb.304:                              ;   in Loop: Header=BB1_2 Depth=1
	s_delay_alu instid0(VALU_DEP_1)
	v_add_nc_u32_e32 v10, 0x780000, v10
; %bb.305:                              ;   in Loop: Header=BB1_2 Depth=1
	s_or_b32 exec_lo, exec_lo, s31
.LBB1_306:                              ;   in Loop: Header=BB1_2 Depth=1
	s_and_not1_saveexec_b32 s30, s30
; %bb.307:                              ;   in Loop: Header=BB1_2 Depth=1
	s_delay_alu instid0(VALU_DEP_1)
	v_add_nc_u32_e32 v10, 0x7c0000, v10
; %bb.308:                              ;   in Loop: Header=BB1_2 Depth=1
	s_or_b32 exec_lo, exec_lo, s30
	v_mov_b32_e32 v0, s1
	s_mov_b32 s30, exec_lo
	ds_load_2addr_b64 v[12:15], v0 offset0:9 offset1:10
	ds_load_b64 v[16:17], v0 offset:88
	s_wait_dscnt 0x1
	v_mul_f64_e32 v[0:1], v[4:5], v[14:15]
	s_delay_alu instid0(VALU_DEP_1) | instskip(SKIP_1) | instid1(VALU_DEP_1)
	v_fmac_f64_e32 v[0:1], v[2:3], v[12:13]
	s_wait_dscnt 0x0
	v_fmac_f64_e32 v[0:1], v[6:7], v[16:17]
	s_delay_alu instid0(VALU_DEP_1)
	v_cmpx_ngt_f64_e32 s[28:29], v[0:1]
	s_xor_b32 s30, exec_lo, s30
	s_cbranch_execz .LBB1_428
; %bb.309:                              ;   in Loop: Header=BB1_2 Depth=1
	s_mov_b32 s31, exec_lo
	v_cmpx_ngt_f64_e32 s[70:71], v[0:1]
	s_xor_b32 s31, exec_lo, s31
	s_cbranch_execz .LBB1_425
; %bb.310:                              ;   in Loop: Header=BB1_2 Depth=1
	s_mov_b32 s33, exec_lo
	v_cmpx_ngt_f64_e32 s[68:69], v[0:1]
	s_xor_b32 s33, exec_lo, s33
	s_cbranch_execz .LBB1_422
; %bb.311:                              ;   in Loop: Header=BB1_2 Depth=1
	s_mov_b32 s34, exec_lo
	v_cmpx_ngt_f64_e32 s[26:27], v[0:1]
	s_xor_b32 s34, exec_lo, s34
	s_cbranch_execz .LBB1_419
; %bb.312:                              ;   in Loop: Header=BB1_2 Depth=1
	s_mov_b32 s35, exec_lo
	v_cmpx_ngt_f64_e32 s[24:25], v[0:1]
	s_xor_b32 s35, exec_lo, s35
	s_cbranch_execz .LBB1_416
; %bb.313:                              ;   in Loop: Header=BB1_2 Depth=1
	s_mov_b32 s72, exec_lo
	v_cmpx_ngt_f64_e32 s[22:23], v[0:1]
	s_xor_b32 s72, exec_lo, s72
	s_cbranch_execz .LBB1_413
; %bb.314:                              ;   in Loop: Header=BB1_2 Depth=1
	s_mov_b32 s73, exec_lo
	v_cmpx_ngt_f64_e32 s[20:21], v[0:1]
	s_xor_b32 s73, exec_lo, s73
	s_cbranch_execz .LBB1_410
; %bb.315:                              ;   in Loop: Header=BB1_2 Depth=1
	s_mov_b32 s74, exec_lo
	v_cmpx_ngt_f64_e32 s[18:19], v[0:1]
	s_xor_b32 s74, exec_lo, s74
	s_cbranch_execz .LBB1_407
; %bb.316:                              ;   in Loop: Header=BB1_2 Depth=1
	s_mov_b32 s75, exec_lo
	v_cmpx_ngt_f64_e32 s[16:17], v[0:1]
	s_xor_b32 s75, exec_lo, s75
	s_cbranch_execz .LBB1_404
; %bb.317:                              ;   in Loop: Header=BB1_2 Depth=1
	s_mov_b32 s76, exec_lo
	v_cmpx_ngt_f64_e32 s[14:15], v[0:1]
	s_xor_b32 s76, exec_lo, s76
	s_cbranch_execz .LBB1_401
; %bb.318:                              ;   in Loop: Header=BB1_2 Depth=1
	s_mov_b32 s77, exec_lo
	v_cmpx_ngt_f64_e32 s[12:13], v[0:1]
	s_xor_b32 s77, exec_lo, s77
	s_cbranch_execz .LBB1_398
; %bb.319:                              ;   in Loop: Header=BB1_2 Depth=1
	s_mov_b32 s78, exec_lo
	v_cmpx_ngt_f64_e32 s[10:11], v[0:1]
	s_xor_b32 s78, exec_lo, s78
	s_cbranch_execz .LBB1_395
; %bb.320:                              ;   in Loop: Header=BB1_2 Depth=1
	s_mov_b32 s79, exec_lo
	v_cmpx_ngt_f64_e32 s[8:9], v[0:1]
	s_xor_b32 s79, exec_lo, s79
	s_cbranch_execz .LBB1_392
; %bb.321:                              ;   in Loop: Header=BB1_2 Depth=1
	s_mov_b32 s80, exec_lo
	v_cmpx_ngt_f64_e32 s[6:7], v[0:1]
	s_xor_b32 s80, exec_lo, s80
	s_cbranch_execz .LBB1_389
; %bb.322:                              ;   in Loop: Header=BB1_2 Depth=1
	s_mov_b32 s81, exec_lo
	v_cmpx_ngt_f64_e32 s[4:5], v[0:1]
	s_xor_b32 s81, exec_lo, s81
	s_cbranch_execz .LBB1_386
; %bb.323:                              ;   in Loop: Header=BB1_2 Depth=1
	s_mov_b32 s82, exec_lo
	v_cmpx_ngt_f64_e32 s[50:51], v[0:1]
	s_xor_b32 s82, exec_lo, s82
	s_cbranch_execz .LBB1_383
; %bb.324:                              ;   in Loop: Header=BB1_2 Depth=1
	s_mov_b32 s83, exec_lo
	v_cmpx_ngt_f64_e32 s[48:49], v[0:1]
	s_xor_b32 s83, exec_lo, s83
	s_cbranch_execz .LBB1_380
; %bb.325:                              ;   in Loop: Header=BB1_2 Depth=1
	s_mov_b32 s84, exec_lo
	v_cmpx_ngt_f64_e32 s[46:47], v[0:1]
	s_xor_b32 s84, exec_lo, s84
	s_cbranch_execz .LBB1_377
; %bb.326:                              ;   in Loop: Header=BB1_2 Depth=1
	s_mov_b32 s85, exec_lo
	v_cmpx_ngt_f64_e32 s[44:45], v[0:1]
	s_xor_b32 s85, exec_lo, s85
	s_cbranch_execz .LBB1_374
; %bb.327:                              ;   in Loop: Header=BB1_2 Depth=1
	s_mov_b32 s86, exec_lo
	v_cmpx_ngt_f64_e32 s[42:43], v[0:1]
	s_xor_b32 s86, exec_lo, s86
	s_cbranch_execz .LBB1_371
; %bb.328:                              ;   in Loop: Header=BB1_2 Depth=1
	s_mov_b32 s87, exec_lo
	v_cmpx_ngt_f64_e32 s[40:41], v[0:1]
	s_xor_b32 s87, exec_lo, s87
	s_cbranch_execz .LBB1_368
; %bb.329:                              ;   in Loop: Header=BB1_2 Depth=1
	s_mov_b32 s88, exec_lo
	v_cmpx_ngt_f64_e32 s[38:39], v[0:1]
	s_xor_b32 s88, exec_lo, s88
	s_cbranch_execz .LBB1_365
; %bb.330:                              ;   in Loop: Header=BB1_2 Depth=1
	s_mov_b32 s89, exec_lo
	v_cmpx_ngt_f64_e32 s[36:37], v[0:1]
	s_xor_b32 s89, exec_lo, s89
	s_cbranch_execz .LBB1_362
; %bb.331:                              ;   in Loop: Header=BB1_2 Depth=1
	s_mov_b32 s90, exec_lo
	v_cmpx_ngt_f64_e32 s[66:67], v[0:1]
	s_xor_b32 s90, exec_lo, s90
	s_cbranch_execz .LBB1_359
; %bb.332:                              ;   in Loop: Header=BB1_2 Depth=1
	s_mov_b32 s91, exec_lo
	v_cmpx_ngt_f64_e32 s[64:65], v[0:1]
	s_xor_b32 s91, exec_lo, s91
	s_cbranch_execz .LBB1_356
; %bb.333:                              ;   in Loop: Header=BB1_2 Depth=1
	s_mov_b32 s92, exec_lo
	v_cmpx_ngt_f64_e32 s[62:63], v[0:1]
	s_xor_b32 s92, exec_lo, s92
	s_cbranch_execz .LBB1_353
; %bb.334:                              ;   in Loop: Header=BB1_2 Depth=1
	s_mov_b32 s93, exec_lo
	v_cmpx_ngt_f64_e32 s[60:61], v[0:1]
	s_xor_b32 s93, exec_lo, s93
	s_cbranch_execz .LBB1_350
; %bb.335:                              ;   in Loop: Header=BB1_2 Depth=1
	s_mov_b32 s94, exec_lo
	v_cmpx_ngt_f64_e32 s[58:59], v[0:1]
	s_xor_b32 s94, exec_lo, s94
	s_cbranch_execz .LBB1_347
; %bb.336:                              ;   in Loop: Header=BB1_2 Depth=1
	s_mov_b32 s95, exec_lo
	v_cmpx_ngt_f64_e32 s[56:57], v[0:1]
	s_xor_b32 s95, exec_lo, s95
	s_cbranch_execz .LBB1_344
; %bb.337:                              ;   in Loop: Header=BB1_2 Depth=1
	s_mov_b32 s96, exec_lo
	v_cmpx_ngt_f64_e32 s[54:55], v[0:1]
	s_xor_b32 s96, exec_lo, s96
	s_cbranch_execz .LBB1_341
; %bb.338:                              ;   in Loop: Header=BB1_2 Depth=1
	s_mov_b32 s97, exec_lo
	v_cmpx_gt_f64_e32 s[52:53], v[0:1]
; %bb.339:                              ;   in Loop: Header=BB1_2 Depth=1
	v_add_nc_u32_e32 v10, 0x4000000, v10
; %bb.340:                              ;   in Loop: Header=BB1_2 Depth=1
	s_or_b32 exec_lo, exec_lo, s97
.LBB1_341:                              ;   in Loop: Header=BB1_2 Depth=1
	s_and_not1_saveexec_b32 s96, s96
; %bb.342:                              ;   in Loop: Header=BB1_2 Depth=1
	s_delay_alu instid0(VALU_DEP_1)
	v_add_nc_u32_e32 v10, 0x8000000, v10
; %bb.343:                              ;   in Loop: Header=BB1_2 Depth=1
	s_or_b32 exec_lo, exec_lo, s96
.LBB1_344:                              ;   in Loop: Header=BB1_2 Depth=1
	s_and_not1_saveexec_b32 s95, s95
; %bb.345:                              ;   in Loop: Header=BB1_2 Depth=1
	s_delay_alu instid0(VALU_DEP_1)
	v_add_nc_u32_e32 v10, 0xc000000, v10
; %bb.346:                              ;   in Loop: Header=BB1_2 Depth=1
	s_or_b32 exec_lo, exec_lo, s95
.LBB1_347:                              ;   in Loop: Header=BB1_2 Depth=1
	s_and_not1_saveexec_b32 s94, s94
; %bb.348:                              ;   in Loop: Header=BB1_2 Depth=1
	s_delay_alu instid0(VALU_DEP_1)
	v_add_nc_u32_e32 v10, 0x10000000, v10
; %bb.349:                              ;   in Loop: Header=BB1_2 Depth=1
	s_or_b32 exec_lo, exec_lo, s94
.LBB1_350:                              ;   in Loop: Header=BB1_2 Depth=1
	s_and_not1_saveexec_b32 s93, s93
; %bb.351:                              ;   in Loop: Header=BB1_2 Depth=1
	s_delay_alu instid0(VALU_DEP_1)
	v_add_nc_u32_e32 v10, 0x14000000, v10
; %bb.352:                              ;   in Loop: Header=BB1_2 Depth=1
	s_or_b32 exec_lo, exec_lo, s93
.LBB1_353:                              ;   in Loop: Header=BB1_2 Depth=1
	s_and_not1_saveexec_b32 s92, s92
; %bb.354:                              ;   in Loop: Header=BB1_2 Depth=1
	s_delay_alu instid0(VALU_DEP_1)
	v_add_nc_u32_e32 v10, 0x18000000, v10
; %bb.355:                              ;   in Loop: Header=BB1_2 Depth=1
	s_or_b32 exec_lo, exec_lo, s92
.LBB1_356:                              ;   in Loop: Header=BB1_2 Depth=1
	s_and_not1_saveexec_b32 s91, s91
; %bb.357:                              ;   in Loop: Header=BB1_2 Depth=1
	s_delay_alu instid0(VALU_DEP_1)
	v_add_nc_u32_e32 v10, 0x1c000000, v10
; %bb.358:                              ;   in Loop: Header=BB1_2 Depth=1
	s_or_b32 exec_lo, exec_lo, s91
.LBB1_359:                              ;   in Loop: Header=BB1_2 Depth=1
	s_and_not1_saveexec_b32 s90, s90
; %bb.360:                              ;   in Loop: Header=BB1_2 Depth=1
	s_delay_alu instid0(VALU_DEP_1)
	v_add_nc_u32_e32 v10, 0x20000000, v10
; %bb.361:                              ;   in Loop: Header=BB1_2 Depth=1
	s_or_b32 exec_lo, exec_lo, s90
.LBB1_362:                              ;   in Loop: Header=BB1_2 Depth=1
	s_and_not1_saveexec_b32 s89, s89
; %bb.363:                              ;   in Loop: Header=BB1_2 Depth=1
	s_delay_alu instid0(VALU_DEP_1)
	v_add_nc_u32_e32 v10, 0x24000000, v10
; %bb.364:                              ;   in Loop: Header=BB1_2 Depth=1
	s_or_b32 exec_lo, exec_lo, s89
.LBB1_365:                              ;   in Loop: Header=BB1_2 Depth=1
	s_and_not1_saveexec_b32 s88, s88
; %bb.366:                              ;   in Loop: Header=BB1_2 Depth=1
	s_delay_alu instid0(VALU_DEP_1)
	v_add_nc_u32_e32 v10, 0x28000000, v10
; %bb.367:                              ;   in Loop: Header=BB1_2 Depth=1
	s_or_b32 exec_lo, exec_lo, s88
.LBB1_368:                              ;   in Loop: Header=BB1_2 Depth=1
	s_and_not1_saveexec_b32 s87, s87
; %bb.369:                              ;   in Loop: Header=BB1_2 Depth=1
	s_delay_alu instid0(VALU_DEP_1)
	v_add_nc_u32_e32 v10, 0x2c000000, v10
; %bb.370:                              ;   in Loop: Header=BB1_2 Depth=1
	s_or_b32 exec_lo, exec_lo, s87
.LBB1_371:                              ;   in Loop: Header=BB1_2 Depth=1
	s_and_not1_saveexec_b32 s86, s86
; %bb.372:                              ;   in Loop: Header=BB1_2 Depth=1
	s_delay_alu instid0(VALU_DEP_1)
	v_add_nc_u32_e32 v10, 0x30000000, v10
; %bb.373:                              ;   in Loop: Header=BB1_2 Depth=1
	s_or_b32 exec_lo, exec_lo, s86
.LBB1_374:                              ;   in Loop: Header=BB1_2 Depth=1
	s_and_not1_saveexec_b32 s85, s85
; %bb.375:                              ;   in Loop: Header=BB1_2 Depth=1
	s_delay_alu instid0(VALU_DEP_1)
	v_add_nc_u32_e32 v10, 0x34000000, v10
; %bb.376:                              ;   in Loop: Header=BB1_2 Depth=1
	s_or_b32 exec_lo, exec_lo, s85
.LBB1_377:                              ;   in Loop: Header=BB1_2 Depth=1
	s_and_not1_saveexec_b32 s84, s84
; %bb.378:                              ;   in Loop: Header=BB1_2 Depth=1
	s_delay_alu instid0(VALU_DEP_1)
	v_add_nc_u32_e32 v10, 0x38000000, v10
; %bb.379:                              ;   in Loop: Header=BB1_2 Depth=1
	s_or_b32 exec_lo, exec_lo, s84
.LBB1_380:                              ;   in Loop: Header=BB1_2 Depth=1
	s_and_not1_saveexec_b32 s83, s83
; %bb.381:                              ;   in Loop: Header=BB1_2 Depth=1
	s_delay_alu instid0(VALU_DEP_1)
	v_add_nc_u32_e32 v10, 0x3c000000, v10
; %bb.382:                              ;   in Loop: Header=BB1_2 Depth=1
	s_or_b32 exec_lo, exec_lo, s83
.LBB1_383:                              ;   in Loop: Header=BB1_2 Depth=1
	s_and_not1_saveexec_b32 s82, s82
; %bb.384:                              ;   in Loop: Header=BB1_2 Depth=1
	s_delay_alu instid0(VALU_DEP_1)
	v_add_nc_u32_e32 v10, 2.0, v10
; %bb.385:                              ;   in Loop: Header=BB1_2 Depth=1
	s_or_b32 exec_lo, exec_lo, s82
.LBB1_386:                              ;   in Loop: Header=BB1_2 Depth=1
	s_and_not1_saveexec_b32 s81, s81
; %bb.387:                              ;   in Loop: Header=BB1_2 Depth=1
	s_delay_alu instid0(VALU_DEP_1)
	v_add_nc_u32_e32 v10, 0x44000000, v10
; %bb.388:                              ;   in Loop: Header=BB1_2 Depth=1
	s_or_b32 exec_lo, exec_lo, s81
.LBB1_389:                              ;   in Loop: Header=BB1_2 Depth=1
	s_and_not1_saveexec_b32 s80, s80
; %bb.390:                              ;   in Loop: Header=BB1_2 Depth=1
	s_delay_alu instid0(VALU_DEP_1)
	v_add_nc_u32_e32 v10, 0x48000000, v10
; %bb.391:                              ;   in Loop: Header=BB1_2 Depth=1
	s_or_b32 exec_lo, exec_lo, s80
.LBB1_392:                              ;   in Loop: Header=BB1_2 Depth=1
	s_and_not1_saveexec_b32 s79, s79
; %bb.393:                              ;   in Loop: Header=BB1_2 Depth=1
	s_delay_alu instid0(VALU_DEP_1)
	v_add_nc_u32_e32 v10, 0x4c000000, v10
; %bb.394:                              ;   in Loop: Header=BB1_2 Depth=1
	s_or_b32 exec_lo, exec_lo, s79
.LBB1_395:                              ;   in Loop: Header=BB1_2 Depth=1
	s_and_not1_saveexec_b32 s78, s78
; %bb.396:                              ;   in Loop: Header=BB1_2 Depth=1
	s_delay_alu instid0(VALU_DEP_1)
	v_add_nc_u32_e32 v10, 0x50000000, v10
; %bb.397:                              ;   in Loop: Header=BB1_2 Depth=1
	s_or_b32 exec_lo, exec_lo, s78
.LBB1_398:                              ;   in Loop: Header=BB1_2 Depth=1
	s_and_not1_saveexec_b32 s77, s77
; %bb.399:                              ;   in Loop: Header=BB1_2 Depth=1
	s_delay_alu instid0(VALU_DEP_1)
	v_add_nc_u32_e32 v10, 0x54000000, v10
; %bb.400:                              ;   in Loop: Header=BB1_2 Depth=1
	s_or_b32 exec_lo, exec_lo, s77
.LBB1_401:                              ;   in Loop: Header=BB1_2 Depth=1
	s_and_not1_saveexec_b32 s76, s76
; %bb.402:                              ;   in Loop: Header=BB1_2 Depth=1
	s_delay_alu instid0(VALU_DEP_1)
	v_add_nc_u32_e32 v10, 0x58000000, v10
; %bb.403:                              ;   in Loop: Header=BB1_2 Depth=1
	s_or_b32 exec_lo, exec_lo, s76
.LBB1_404:                              ;   in Loop: Header=BB1_2 Depth=1
	s_and_not1_saveexec_b32 s75, s75
; %bb.405:                              ;   in Loop: Header=BB1_2 Depth=1
	s_delay_alu instid0(VALU_DEP_1)
	v_add_nc_u32_e32 v10, 0x5c000000, v10
; %bb.406:                              ;   in Loop: Header=BB1_2 Depth=1
	s_or_b32 exec_lo, exec_lo, s75
.LBB1_407:                              ;   in Loop: Header=BB1_2 Depth=1
	s_and_not1_saveexec_b32 s74, s74
; %bb.408:                              ;   in Loop: Header=BB1_2 Depth=1
	s_delay_alu instid0(VALU_DEP_1)
	v_add_nc_u32_e32 v10, 0x60000000, v10
; %bb.409:                              ;   in Loop: Header=BB1_2 Depth=1
	s_or_b32 exec_lo, exec_lo, s74
.LBB1_410:                              ;   in Loop: Header=BB1_2 Depth=1
	s_and_not1_saveexec_b32 s73, s73
; %bb.411:                              ;   in Loop: Header=BB1_2 Depth=1
	s_delay_alu instid0(VALU_DEP_1)
	v_add_nc_u32_e32 v10, 0x64000000, v10
; %bb.412:                              ;   in Loop: Header=BB1_2 Depth=1
	s_or_b32 exec_lo, exec_lo, s73
.LBB1_413:                              ;   in Loop: Header=BB1_2 Depth=1
	s_and_not1_saveexec_b32 s72, s72
; %bb.414:                              ;   in Loop: Header=BB1_2 Depth=1
	s_delay_alu instid0(VALU_DEP_1)
	v_add_nc_u32_e32 v10, 0x68000000, v10
; %bb.415:                              ;   in Loop: Header=BB1_2 Depth=1
	s_or_b32 exec_lo, exec_lo, s72
.LBB1_416:                              ;   in Loop: Header=BB1_2 Depth=1
	s_and_not1_saveexec_b32 s35, s35
; %bb.417:                              ;   in Loop: Header=BB1_2 Depth=1
	s_delay_alu instid0(VALU_DEP_1)
	v_add_nc_u32_e32 v10, 0x6c000000, v10
; %bb.418:                              ;   in Loop: Header=BB1_2 Depth=1
	s_or_b32 exec_lo, exec_lo, s35
.LBB1_419:                              ;   in Loop: Header=BB1_2 Depth=1
	s_and_not1_saveexec_b32 s34, s34
; %bb.420:                              ;   in Loop: Header=BB1_2 Depth=1
	s_delay_alu instid0(VALU_DEP_1)
	v_add_nc_u32_e32 v10, 0x70000000, v10
; %bb.421:                              ;   in Loop: Header=BB1_2 Depth=1
	s_or_b32 exec_lo, exec_lo, s34
.LBB1_422:                              ;   in Loop: Header=BB1_2 Depth=1
	s_and_not1_saveexec_b32 s33, s33
; %bb.423:                              ;   in Loop: Header=BB1_2 Depth=1
	s_delay_alu instid0(VALU_DEP_1)
	v_add_nc_u32_e32 v10, 0x74000000, v10
; %bb.424:                              ;   in Loop: Header=BB1_2 Depth=1
	s_or_b32 exec_lo, exec_lo, s33
.LBB1_425:                              ;   in Loop: Header=BB1_2 Depth=1
	s_and_not1_saveexec_b32 s31, s31
; %bb.426:                              ;   in Loop: Header=BB1_2 Depth=1
	s_delay_alu instid0(VALU_DEP_1)
	v_add_nc_u32_e32 v10, 0x78000000, v10
; %bb.427:                              ;   in Loop: Header=BB1_2 Depth=1
	s_or_b32 exec_lo, exec_lo, s31
.LBB1_428:                              ;   in Loop: Header=BB1_2 Depth=1
	s_and_not1_saveexec_b32 s30, s30
; %bb.429:                              ;   in Loop: Header=BB1_2 Depth=1
	s_delay_alu instid0(VALU_DEP_1)
	v_add_nc_u32_e32 v10, 0x7c000000, v10
; %bb.430:                              ;   in Loop: Header=BB1_2 Depth=1
	s_or_b32 exec_lo, exec_lo, s30
	v_dual_mov_b32 v0, s1 :: v_dual_mov_b32 v9, 0x7c
	v_lshl_add_u32 v11, s0, 12, v8
	s_mov_b32 s30, exec_lo
	ds_load_2addr_b64 v[12:15], v0 offset0:12 offset1:13
	ds_load_b64 v[16:17], v0 offset:112
	global_store_b32 v11, v10, s[2:3] scale_offset
	s_wait_dscnt 0x1
	v_mul_f64_e32 v[0:1], v[4:5], v[14:15]
	s_delay_alu instid0(VALU_DEP_1) | instskip(SKIP_1) | instid1(VALU_DEP_1)
	v_fmac_f64_e32 v[0:1], v[2:3], v[12:13]
	s_wait_dscnt 0x0
	v_fmac_f64_e32 v[0:1], v[6:7], v[16:17]
	s_wait_xcnt 0x0
	s_delay_alu instid0(VALU_DEP_1)
	v_cmpx_ngt_f64_e32 s[28:29], v[0:1]
	s_cbranch_execz .LBB1_492
; %bb.431:                              ;   in Loop: Header=BB1_2 Depth=1
	v_mov_b32_e32 v9, 0x78
	s_mov_b32 s31, exec_lo
	v_cmpx_ngt_f64_e32 s[70:71], v[0:1]
	s_cbranch_execz .LBB1_491
; %bb.432:                              ;   in Loop: Header=BB1_2 Depth=1
	v_mov_b32_e32 v9, 0x74
	s_mov_b32 s33, exec_lo
	;; [unrolled: 5-line block ×30, first 2 shown]
	v_cmpx_gt_f64_e32 s[52:53], v[0:1]
; %bb.461:                              ;   in Loop: Header=BB1_2 Depth=1
	v_mov_b32_e32 v9, 4
; %bb.462:                              ;   in Loop: Header=BB1_2 Depth=1
	s_or_b32 exec_lo, exec_lo, s97
.LBB1_463:                              ;   in Loop: Header=BB1_2 Depth=1
	s_delay_alu instid0(SALU_CYCLE_1)
	s_or_b32 exec_lo, exec_lo, s96
.LBB1_464:                              ;   in Loop: Header=BB1_2 Depth=1
	s_delay_alu instid0(SALU_CYCLE_1)
	s_or_b32 exec_lo, exec_lo, s95
.LBB1_465:                              ;   in Loop: Header=BB1_2 Depth=1
	s_delay_alu instid0(SALU_CYCLE_1)
	s_or_b32 exec_lo, exec_lo, s94
.LBB1_466:                              ;   in Loop: Header=BB1_2 Depth=1
	s_delay_alu instid0(SALU_CYCLE_1)
	s_or_b32 exec_lo, exec_lo, s93
.LBB1_467:                              ;   in Loop: Header=BB1_2 Depth=1
	s_delay_alu instid0(SALU_CYCLE_1)
	s_or_b32 exec_lo, exec_lo, s92
.LBB1_468:                              ;   in Loop: Header=BB1_2 Depth=1
	s_delay_alu instid0(SALU_CYCLE_1)
	s_or_b32 exec_lo, exec_lo, s91
.LBB1_469:                              ;   in Loop: Header=BB1_2 Depth=1
	s_delay_alu instid0(SALU_CYCLE_1)
	s_or_b32 exec_lo, exec_lo, s90
.LBB1_470:                              ;   in Loop: Header=BB1_2 Depth=1
	s_delay_alu instid0(SALU_CYCLE_1)
	s_or_b32 exec_lo, exec_lo, s89
.LBB1_471:                              ;   in Loop: Header=BB1_2 Depth=1
	s_delay_alu instid0(SALU_CYCLE_1)
	s_or_b32 exec_lo, exec_lo, s88
.LBB1_472:                              ;   in Loop: Header=BB1_2 Depth=1
	s_delay_alu instid0(SALU_CYCLE_1)
	s_or_b32 exec_lo, exec_lo, s87
.LBB1_473:                              ;   in Loop: Header=BB1_2 Depth=1
	s_delay_alu instid0(SALU_CYCLE_1)
	s_or_b32 exec_lo, exec_lo, s86
.LBB1_474:                              ;   in Loop: Header=BB1_2 Depth=1
	s_delay_alu instid0(SALU_CYCLE_1)
	s_or_b32 exec_lo, exec_lo, s85
.LBB1_475:                              ;   in Loop: Header=BB1_2 Depth=1
	s_delay_alu instid0(SALU_CYCLE_1)
	s_or_b32 exec_lo, exec_lo, s84
.LBB1_476:                              ;   in Loop: Header=BB1_2 Depth=1
	s_delay_alu instid0(SALU_CYCLE_1)
	s_or_b32 exec_lo, exec_lo, s83
.LBB1_477:                              ;   in Loop: Header=BB1_2 Depth=1
	s_delay_alu instid0(SALU_CYCLE_1)
	s_or_b32 exec_lo, exec_lo, s82
.LBB1_478:                              ;   in Loop: Header=BB1_2 Depth=1
	s_delay_alu instid0(SALU_CYCLE_1)
	s_or_b32 exec_lo, exec_lo, s81
.LBB1_479:                              ;   in Loop: Header=BB1_2 Depth=1
	s_delay_alu instid0(SALU_CYCLE_1)
	s_or_b32 exec_lo, exec_lo, s80
.LBB1_480:                              ;   in Loop: Header=BB1_2 Depth=1
	s_delay_alu instid0(SALU_CYCLE_1)
	s_or_b32 exec_lo, exec_lo, s79
.LBB1_481:                              ;   in Loop: Header=BB1_2 Depth=1
	s_delay_alu instid0(SALU_CYCLE_1)
	s_or_b32 exec_lo, exec_lo, s78
.LBB1_482:                              ;   in Loop: Header=BB1_2 Depth=1
	s_delay_alu instid0(SALU_CYCLE_1)
	s_or_b32 exec_lo, exec_lo, s77
.LBB1_483:                              ;   in Loop: Header=BB1_2 Depth=1
	s_delay_alu instid0(SALU_CYCLE_1)
	s_or_b32 exec_lo, exec_lo, s76
.LBB1_484:                              ;   in Loop: Header=BB1_2 Depth=1
	s_delay_alu instid0(SALU_CYCLE_1)
	s_or_b32 exec_lo, exec_lo, s75
.LBB1_485:                              ;   in Loop: Header=BB1_2 Depth=1
	s_delay_alu instid0(SALU_CYCLE_1)
	s_or_b32 exec_lo, exec_lo, s74
.LBB1_486:                              ;   in Loop: Header=BB1_2 Depth=1
	s_delay_alu instid0(SALU_CYCLE_1)
	s_or_b32 exec_lo, exec_lo, s73
.LBB1_487:                              ;   in Loop: Header=BB1_2 Depth=1
	s_delay_alu instid0(SALU_CYCLE_1)
	s_or_b32 exec_lo, exec_lo, s72
.LBB1_488:                              ;   in Loop: Header=BB1_2 Depth=1
	s_delay_alu instid0(SALU_CYCLE_1)
	s_or_b32 exec_lo, exec_lo, s35
.LBB1_489:                              ;   in Loop: Header=BB1_2 Depth=1
	s_delay_alu instid0(SALU_CYCLE_1)
	s_or_b32 exec_lo, exec_lo, s34
.LBB1_490:                              ;   in Loop: Header=BB1_2 Depth=1
	s_delay_alu instid0(SALU_CYCLE_1)
	s_or_b32 exec_lo, exec_lo, s33
.LBB1_491:                              ;   in Loop: Header=BB1_2 Depth=1
	s_delay_alu instid0(SALU_CYCLE_1)
	s_or_b32 exec_lo, exec_lo, s31
.LBB1_492:                              ;   in Loop: Header=BB1_2 Depth=1
	s_delay_alu instid0(SALU_CYCLE_1)
	s_or_b32 exec_lo, exec_lo, s30
	v_mov_b32_e32 v0, s1
	s_mov_b32 s30, exec_lo
	ds_load_2addr_b64 v[10:13], v0 offset0:15 offset1:16
	ds_load_b64 v[14:15], v0 offset:136
	s_wait_dscnt 0x1
	v_mul_f64_e32 v[0:1], v[4:5], v[12:13]
	s_delay_alu instid0(VALU_DEP_1) | instskip(SKIP_1) | instid1(VALU_DEP_1)
	v_fmac_f64_e32 v[0:1], v[2:3], v[10:11]
	s_wait_dscnt 0x0
	v_fmac_f64_e32 v[0:1], v[6:7], v[14:15]
	s_delay_alu instid0(VALU_DEP_1)
	v_cmpx_ngt_f64_e32 s[28:29], v[0:1]
	s_xor_b32 s30, exec_lo, s30
	s_cbranch_execz .LBB1_612
; %bb.493:                              ;   in Loop: Header=BB1_2 Depth=1
	s_mov_b32 s31, exec_lo
	v_cmpx_ngt_f64_e32 s[70:71], v[0:1]
	s_xor_b32 s31, exec_lo, s31
	s_cbranch_execz .LBB1_609
; %bb.494:                              ;   in Loop: Header=BB1_2 Depth=1
	s_mov_b32 s33, exec_lo
	;; [unrolled: 5-line block ×30, first 2 shown]
	v_cmpx_gt_f64_e32 s[52:53], v[0:1]
; %bb.523:                              ;   in Loop: Header=BB1_2 Depth=1
	v_or_b32_e32 v9, 0x400, v9
; %bb.524:                              ;   in Loop: Header=BB1_2 Depth=1
	s_or_b32 exec_lo, exec_lo, s97
.LBB1_525:                              ;   in Loop: Header=BB1_2 Depth=1
	s_and_not1_saveexec_b32 s96, s96
; %bb.526:                              ;   in Loop: Header=BB1_2 Depth=1
	s_delay_alu instid0(VALU_DEP_1)
	v_or_b32_e32 v9, 0x800, v9
; %bb.527:                              ;   in Loop: Header=BB1_2 Depth=1
	s_or_b32 exec_lo, exec_lo, s96
.LBB1_528:                              ;   in Loop: Header=BB1_2 Depth=1
	s_and_not1_saveexec_b32 s95, s95
; %bb.529:                              ;   in Loop: Header=BB1_2 Depth=1
	s_delay_alu instid0(VALU_DEP_1)
	v_or_b32_e32 v9, 0xc00, v9
; %bb.530:                              ;   in Loop: Header=BB1_2 Depth=1
	s_or_b32 exec_lo, exec_lo, s95
.LBB1_531:                              ;   in Loop: Header=BB1_2 Depth=1
	s_and_not1_saveexec_b32 s94, s94
; %bb.532:                              ;   in Loop: Header=BB1_2 Depth=1
	s_delay_alu instid0(VALU_DEP_1)
	v_or_b32_e32 v9, 0x1000, v9
; %bb.533:                              ;   in Loop: Header=BB1_2 Depth=1
	s_or_b32 exec_lo, exec_lo, s94
.LBB1_534:                              ;   in Loop: Header=BB1_2 Depth=1
	s_and_not1_saveexec_b32 s93, s93
; %bb.535:                              ;   in Loop: Header=BB1_2 Depth=1
	s_delay_alu instid0(VALU_DEP_1)
	v_or_b32_e32 v9, 0x1400, v9
; %bb.536:                              ;   in Loop: Header=BB1_2 Depth=1
	s_or_b32 exec_lo, exec_lo, s93
.LBB1_537:                              ;   in Loop: Header=BB1_2 Depth=1
	s_and_not1_saveexec_b32 s92, s92
; %bb.538:                              ;   in Loop: Header=BB1_2 Depth=1
	s_delay_alu instid0(VALU_DEP_1)
	v_or_b32_e32 v9, 0x1800, v9
; %bb.539:                              ;   in Loop: Header=BB1_2 Depth=1
	s_or_b32 exec_lo, exec_lo, s92
.LBB1_540:                              ;   in Loop: Header=BB1_2 Depth=1
	s_and_not1_saveexec_b32 s91, s91
; %bb.541:                              ;   in Loop: Header=BB1_2 Depth=1
	s_delay_alu instid0(VALU_DEP_1)
	v_or_b32_e32 v9, 0x1c00, v9
; %bb.542:                              ;   in Loop: Header=BB1_2 Depth=1
	s_or_b32 exec_lo, exec_lo, s91
.LBB1_543:                              ;   in Loop: Header=BB1_2 Depth=1
	s_and_not1_saveexec_b32 s90, s90
; %bb.544:                              ;   in Loop: Header=BB1_2 Depth=1
	s_delay_alu instid0(VALU_DEP_1)
	v_or_b32_e32 v9, 0x2000, v9
; %bb.545:                              ;   in Loop: Header=BB1_2 Depth=1
	s_or_b32 exec_lo, exec_lo, s90
.LBB1_546:                              ;   in Loop: Header=BB1_2 Depth=1
	s_and_not1_saveexec_b32 s89, s89
; %bb.547:                              ;   in Loop: Header=BB1_2 Depth=1
	s_delay_alu instid0(VALU_DEP_1)
	v_or_b32_e32 v9, 0x2400, v9
; %bb.548:                              ;   in Loop: Header=BB1_2 Depth=1
	s_or_b32 exec_lo, exec_lo, s89
.LBB1_549:                              ;   in Loop: Header=BB1_2 Depth=1
	s_and_not1_saveexec_b32 s88, s88
; %bb.550:                              ;   in Loop: Header=BB1_2 Depth=1
	s_delay_alu instid0(VALU_DEP_1)
	v_or_b32_e32 v9, 0x2800, v9
; %bb.551:                              ;   in Loop: Header=BB1_2 Depth=1
	s_or_b32 exec_lo, exec_lo, s88
.LBB1_552:                              ;   in Loop: Header=BB1_2 Depth=1
	s_and_not1_saveexec_b32 s87, s87
; %bb.553:                              ;   in Loop: Header=BB1_2 Depth=1
	s_delay_alu instid0(VALU_DEP_1)
	v_or_b32_e32 v9, 0x2c00, v9
; %bb.554:                              ;   in Loop: Header=BB1_2 Depth=1
	s_or_b32 exec_lo, exec_lo, s87
.LBB1_555:                              ;   in Loop: Header=BB1_2 Depth=1
	s_and_not1_saveexec_b32 s86, s86
; %bb.556:                              ;   in Loop: Header=BB1_2 Depth=1
	s_delay_alu instid0(VALU_DEP_1)
	v_or_b32_e32 v9, 0x3000, v9
; %bb.557:                              ;   in Loop: Header=BB1_2 Depth=1
	s_or_b32 exec_lo, exec_lo, s86
.LBB1_558:                              ;   in Loop: Header=BB1_2 Depth=1
	s_and_not1_saveexec_b32 s85, s85
; %bb.559:                              ;   in Loop: Header=BB1_2 Depth=1
	s_delay_alu instid0(VALU_DEP_1)
	v_or_b32_e32 v9, 0x3400, v9
; %bb.560:                              ;   in Loop: Header=BB1_2 Depth=1
	s_or_b32 exec_lo, exec_lo, s85
.LBB1_561:                              ;   in Loop: Header=BB1_2 Depth=1
	s_and_not1_saveexec_b32 s84, s84
; %bb.562:                              ;   in Loop: Header=BB1_2 Depth=1
	s_delay_alu instid0(VALU_DEP_1)
	v_or_b32_e32 v9, 0x3800, v9
; %bb.563:                              ;   in Loop: Header=BB1_2 Depth=1
	s_or_b32 exec_lo, exec_lo, s84
.LBB1_564:                              ;   in Loop: Header=BB1_2 Depth=1
	s_and_not1_saveexec_b32 s83, s83
; %bb.565:                              ;   in Loop: Header=BB1_2 Depth=1
	s_delay_alu instid0(VALU_DEP_1)
	v_or_b32_e32 v9, 0x3c00, v9
; %bb.566:                              ;   in Loop: Header=BB1_2 Depth=1
	s_or_b32 exec_lo, exec_lo, s83
.LBB1_567:                              ;   in Loop: Header=BB1_2 Depth=1
	s_and_not1_saveexec_b32 s82, s82
; %bb.568:                              ;   in Loop: Header=BB1_2 Depth=1
	s_delay_alu instid0(VALU_DEP_1)
	v_or_b32_e32 v9, 0x4000, v9
; %bb.569:                              ;   in Loop: Header=BB1_2 Depth=1
	s_or_b32 exec_lo, exec_lo, s82
.LBB1_570:                              ;   in Loop: Header=BB1_2 Depth=1
	s_and_not1_saveexec_b32 s81, s81
; %bb.571:                              ;   in Loop: Header=BB1_2 Depth=1
	s_delay_alu instid0(VALU_DEP_1)
	v_or_b32_e32 v9, 0x4400, v9
; %bb.572:                              ;   in Loop: Header=BB1_2 Depth=1
	s_or_b32 exec_lo, exec_lo, s81
.LBB1_573:                              ;   in Loop: Header=BB1_2 Depth=1
	s_and_not1_saveexec_b32 s80, s80
; %bb.574:                              ;   in Loop: Header=BB1_2 Depth=1
	s_delay_alu instid0(VALU_DEP_1)
	v_or_b32_e32 v9, 0x4800, v9
; %bb.575:                              ;   in Loop: Header=BB1_2 Depth=1
	s_or_b32 exec_lo, exec_lo, s80
.LBB1_576:                              ;   in Loop: Header=BB1_2 Depth=1
	s_and_not1_saveexec_b32 s79, s79
; %bb.577:                              ;   in Loop: Header=BB1_2 Depth=1
	s_delay_alu instid0(VALU_DEP_1)
	v_or_b32_e32 v9, 0x4c00, v9
; %bb.578:                              ;   in Loop: Header=BB1_2 Depth=1
	s_or_b32 exec_lo, exec_lo, s79
.LBB1_579:                              ;   in Loop: Header=BB1_2 Depth=1
	s_and_not1_saveexec_b32 s78, s78
; %bb.580:                              ;   in Loop: Header=BB1_2 Depth=1
	s_delay_alu instid0(VALU_DEP_1)
	v_or_b32_e32 v9, 0x5000, v9
; %bb.581:                              ;   in Loop: Header=BB1_2 Depth=1
	s_or_b32 exec_lo, exec_lo, s78
.LBB1_582:                              ;   in Loop: Header=BB1_2 Depth=1
	s_and_not1_saveexec_b32 s77, s77
; %bb.583:                              ;   in Loop: Header=BB1_2 Depth=1
	s_delay_alu instid0(VALU_DEP_1)
	v_or_b32_e32 v9, 0x5400, v9
; %bb.584:                              ;   in Loop: Header=BB1_2 Depth=1
	s_or_b32 exec_lo, exec_lo, s77
.LBB1_585:                              ;   in Loop: Header=BB1_2 Depth=1
	s_and_not1_saveexec_b32 s76, s76
; %bb.586:                              ;   in Loop: Header=BB1_2 Depth=1
	s_delay_alu instid0(VALU_DEP_1)
	v_or_b32_e32 v9, 0x5800, v9
; %bb.587:                              ;   in Loop: Header=BB1_2 Depth=1
	s_or_b32 exec_lo, exec_lo, s76
.LBB1_588:                              ;   in Loop: Header=BB1_2 Depth=1
	s_and_not1_saveexec_b32 s75, s75
; %bb.589:                              ;   in Loop: Header=BB1_2 Depth=1
	s_delay_alu instid0(VALU_DEP_1)
	v_or_b32_e32 v9, 0x5c00, v9
; %bb.590:                              ;   in Loop: Header=BB1_2 Depth=1
	s_or_b32 exec_lo, exec_lo, s75
.LBB1_591:                              ;   in Loop: Header=BB1_2 Depth=1
	s_and_not1_saveexec_b32 s74, s74
; %bb.592:                              ;   in Loop: Header=BB1_2 Depth=1
	s_delay_alu instid0(VALU_DEP_1)
	v_or_b32_e32 v9, 0x6000, v9
; %bb.593:                              ;   in Loop: Header=BB1_2 Depth=1
	s_or_b32 exec_lo, exec_lo, s74
.LBB1_594:                              ;   in Loop: Header=BB1_2 Depth=1
	s_and_not1_saveexec_b32 s73, s73
; %bb.595:                              ;   in Loop: Header=BB1_2 Depth=1
	s_delay_alu instid0(VALU_DEP_1)
	v_or_b32_e32 v9, 0x6400, v9
; %bb.596:                              ;   in Loop: Header=BB1_2 Depth=1
	s_or_b32 exec_lo, exec_lo, s73
.LBB1_597:                              ;   in Loop: Header=BB1_2 Depth=1
	s_and_not1_saveexec_b32 s72, s72
; %bb.598:                              ;   in Loop: Header=BB1_2 Depth=1
	s_delay_alu instid0(VALU_DEP_1)
	v_or_b32_e32 v9, 0x6800, v9
; %bb.599:                              ;   in Loop: Header=BB1_2 Depth=1
	s_or_b32 exec_lo, exec_lo, s72
.LBB1_600:                              ;   in Loop: Header=BB1_2 Depth=1
	s_and_not1_saveexec_b32 s35, s35
; %bb.601:                              ;   in Loop: Header=BB1_2 Depth=1
	s_delay_alu instid0(VALU_DEP_1)
	v_or_b32_e32 v9, 0x6c00, v9
; %bb.602:                              ;   in Loop: Header=BB1_2 Depth=1
	s_or_b32 exec_lo, exec_lo, s35
.LBB1_603:                              ;   in Loop: Header=BB1_2 Depth=1
	s_and_not1_saveexec_b32 s34, s34
; %bb.604:                              ;   in Loop: Header=BB1_2 Depth=1
	s_delay_alu instid0(VALU_DEP_1)
	v_or_b32_e32 v9, 0x7000, v9
; %bb.605:                              ;   in Loop: Header=BB1_2 Depth=1
	s_or_b32 exec_lo, exec_lo, s34
.LBB1_606:                              ;   in Loop: Header=BB1_2 Depth=1
	s_and_not1_saveexec_b32 s33, s33
; %bb.607:                              ;   in Loop: Header=BB1_2 Depth=1
	s_delay_alu instid0(VALU_DEP_1)
	v_or_b32_e32 v9, 0x7400, v9
; %bb.608:                              ;   in Loop: Header=BB1_2 Depth=1
	s_or_b32 exec_lo, exec_lo, s33
.LBB1_609:                              ;   in Loop: Header=BB1_2 Depth=1
	s_and_not1_saveexec_b32 s31, s31
; %bb.610:                              ;   in Loop: Header=BB1_2 Depth=1
	s_delay_alu instid0(VALU_DEP_1)
	v_or_b32_e32 v9, 0x7800, v9
; %bb.611:                              ;   in Loop: Header=BB1_2 Depth=1
	s_or_b32 exec_lo, exec_lo, s31
.LBB1_612:                              ;   in Loop: Header=BB1_2 Depth=1
	s_and_not1_saveexec_b32 s30, s30
; %bb.613:                              ;   in Loop: Header=BB1_2 Depth=1
	s_delay_alu instid0(VALU_DEP_1)
	v_or_b32_e32 v9, 0x7c00, v9
; %bb.614:                              ;   in Loop: Header=BB1_2 Depth=1
	s_or_b32 exec_lo, exec_lo, s30
	v_mov_b32_e32 v0, s1
	s_mov_b32 s30, exec_lo
	ds_load_2addr_b64 v[10:13], v0 offset0:18 offset1:19
	ds_load_b64 v[14:15], v0 offset:160
	s_wait_dscnt 0x1
	v_mul_f64_e32 v[0:1], v[4:5], v[12:13]
	s_delay_alu instid0(VALU_DEP_1) | instskip(SKIP_1) | instid1(VALU_DEP_1)
	v_fmac_f64_e32 v[0:1], v[2:3], v[10:11]
	s_wait_dscnt 0x0
	v_fmac_f64_e32 v[0:1], v[6:7], v[14:15]
	s_delay_alu instid0(VALU_DEP_1)
	v_cmpx_ngt_f64_e32 s[28:29], v[0:1]
	s_xor_b32 s30, exec_lo, s30
	s_cbranch_execz .LBB1_734
; %bb.615:                              ;   in Loop: Header=BB1_2 Depth=1
	s_mov_b32 s31, exec_lo
	v_cmpx_ngt_f64_e32 s[70:71], v[0:1]
	s_xor_b32 s31, exec_lo, s31
	s_cbranch_execz .LBB1_731
; %bb.616:                              ;   in Loop: Header=BB1_2 Depth=1
	s_mov_b32 s33, exec_lo
	;; [unrolled: 5-line block ×30, first 2 shown]
	v_cmpx_gt_f64_e32 s[52:53], v[0:1]
; %bb.645:                              ;   in Loop: Header=BB1_2 Depth=1
	v_add_nc_u32_e32 v9, 0x40000, v9
; %bb.646:                              ;   in Loop: Header=BB1_2 Depth=1
	s_or_b32 exec_lo, exec_lo, s97
.LBB1_647:                              ;   in Loop: Header=BB1_2 Depth=1
	s_and_not1_saveexec_b32 s96, s96
; %bb.648:                              ;   in Loop: Header=BB1_2 Depth=1
	s_delay_alu instid0(VALU_DEP_1)
	v_add_nc_u32_e32 v9, 0x80000, v9
; %bb.649:                              ;   in Loop: Header=BB1_2 Depth=1
	s_or_b32 exec_lo, exec_lo, s96
.LBB1_650:                              ;   in Loop: Header=BB1_2 Depth=1
	s_and_not1_saveexec_b32 s95, s95
; %bb.651:                              ;   in Loop: Header=BB1_2 Depth=1
	s_delay_alu instid0(VALU_DEP_1)
	v_add_nc_u32_e32 v9, 0xc0000, v9
; %bb.652:                              ;   in Loop: Header=BB1_2 Depth=1
	s_or_b32 exec_lo, exec_lo, s95
.LBB1_653:                              ;   in Loop: Header=BB1_2 Depth=1
	s_and_not1_saveexec_b32 s94, s94
; %bb.654:                              ;   in Loop: Header=BB1_2 Depth=1
	s_delay_alu instid0(VALU_DEP_1)
	v_add_nc_u32_e32 v9, 0x100000, v9
; %bb.655:                              ;   in Loop: Header=BB1_2 Depth=1
	s_or_b32 exec_lo, exec_lo, s94
.LBB1_656:                              ;   in Loop: Header=BB1_2 Depth=1
	s_and_not1_saveexec_b32 s93, s93
; %bb.657:                              ;   in Loop: Header=BB1_2 Depth=1
	s_delay_alu instid0(VALU_DEP_1)
	v_add_nc_u32_e32 v9, 0x140000, v9
; %bb.658:                              ;   in Loop: Header=BB1_2 Depth=1
	s_or_b32 exec_lo, exec_lo, s93
.LBB1_659:                              ;   in Loop: Header=BB1_2 Depth=1
	s_and_not1_saveexec_b32 s92, s92
; %bb.660:                              ;   in Loop: Header=BB1_2 Depth=1
	s_delay_alu instid0(VALU_DEP_1)
	v_add_nc_u32_e32 v9, 0x180000, v9
; %bb.661:                              ;   in Loop: Header=BB1_2 Depth=1
	s_or_b32 exec_lo, exec_lo, s92
.LBB1_662:                              ;   in Loop: Header=BB1_2 Depth=1
	s_and_not1_saveexec_b32 s91, s91
; %bb.663:                              ;   in Loop: Header=BB1_2 Depth=1
	s_delay_alu instid0(VALU_DEP_1)
	v_add_nc_u32_e32 v9, 0x1c0000, v9
; %bb.664:                              ;   in Loop: Header=BB1_2 Depth=1
	s_or_b32 exec_lo, exec_lo, s91
.LBB1_665:                              ;   in Loop: Header=BB1_2 Depth=1
	s_and_not1_saveexec_b32 s90, s90
; %bb.666:                              ;   in Loop: Header=BB1_2 Depth=1
	s_delay_alu instid0(VALU_DEP_1)
	v_add_nc_u32_e32 v9, 0x200000, v9
; %bb.667:                              ;   in Loop: Header=BB1_2 Depth=1
	s_or_b32 exec_lo, exec_lo, s90
.LBB1_668:                              ;   in Loop: Header=BB1_2 Depth=1
	s_and_not1_saveexec_b32 s89, s89
; %bb.669:                              ;   in Loop: Header=BB1_2 Depth=1
	s_delay_alu instid0(VALU_DEP_1)
	v_add_nc_u32_e32 v9, 0x240000, v9
; %bb.670:                              ;   in Loop: Header=BB1_2 Depth=1
	s_or_b32 exec_lo, exec_lo, s89
.LBB1_671:                              ;   in Loop: Header=BB1_2 Depth=1
	s_and_not1_saveexec_b32 s88, s88
; %bb.672:                              ;   in Loop: Header=BB1_2 Depth=1
	s_delay_alu instid0(VALU_DEP_1)
	v_add_nc_u32_e32 v9, 0x280000, v9
; %bb.673:                              ;   in Loop: Header=BB1_2 Depth=1
	s_or_b32 exec_lo, exec_lo, s88
.LBB1_674:                              ;   in Loop: Header=BB1_2 Depth=1
	s_and_not1_saveexec_b32 s87, s87
; %bb.675:                              ;   in Loop: Header=BB1_2 Depth=1
	s_delay_alu instid0(VALU_DEP_1)
	v_add_nc_u32_e32 v9, 0x2c0000, v9
; %bb.676:                              ;   in Loop: Header=BB1_2 Depth=1
	s_or_b32 exec_lo, exec_lo, s87
.LBB1_677:                              ;   in Loop: Header=BB1_2 Depth=1
	s_and_not1_saveexec_b32 s86, s86
; %bb.678:                              ;   in Loop: Header=BB1_2 Depth=1
	s_delay_alu instid0(VALU_DEP_1)
	v_add_nc_u32_e32 v9, 0x300000, v9
; %bb.679:                              ;   in Loop: Header=BB1_2 Depth=1
	s_or_b32 exec_lo, exec_lo, s86
.LBB1_680:                              ;   in Loop: Header=BB1_2 Depth=1
	s_and_not1_saveexec_b32 s85, s85
; %bb.681:                              ;   in Loop: Header=BB1_2 Depth=1
	s_delay_alu instid0(VALU_DEP_1)
	v_add_nc_u32_e32 v9, 0x340000, v9
; %bb.682:                              ;   in Loop: Header=BB1_2 Depth=1
	s_or_b32 exec_lo, exec_lo, s85
.LBB1_683:                              ;   in Loop: Header=BB1_2 Depth=1
	s_and_not1_saveexec_b32 s84, s84
; %bb.684:                              ;   in Loop: Header=BB1_2 Depth=1
	s_delay_alu instid0(VALU_DEP_1)
	v_add_nc_u32_e32 v9, 0x380000, v9
; %bb.685:                              ;   in Loop: Header=BB1_2 Depth=1
	s_or_b32 exec_lo, exec_lo, s84
.LBB1_686:                              ;   in Loop: Header=BB1_2 Depth=1
	s_and_not1_saveexec_b32 s83, s83
; %bb.687:                              ;   in Loop: Header=BB1_2 Depth=1
	s_delay_alu instid0(VALU_DEP_1)
	v_add_nc_u32_e32 v9, 0x3c0000, v9
; %bb.688:                              ;   in Loop: Header=BB1_2 Depth=1
	s_or_b32 exec_lo, exec_lo, s83
.LBB1_689:                              ;   in Loop: Header=BB1_2 Depth=1
	s_and_not1_saveexec_b32 s82, s82
; %bb.690:                              ;   in Loop: Header=BB1_2 Depth=1
	s_delay_alu instid0(VALU_DEP_1)
	v_add_nc_u32_e32 v9, 0x400000, v9
; %bb.691:                              ;   in Loop: Header=BB1_2 Depth=1
	s_or_b32 exec_lo, exec_lo, s82
.LBB1_692:                              ;   in Loop: Header=BB1_2 Depth=1
	s_and_not1_saveexec_b32 s81, s81
; %bb.693:                              ;   in Loop: Header=BB1_2 Depth=1
	s_delay_alu instid0(VALU_DEP_1)
	v_add_nc_u32_e32 v9, 0x440000, v9
; %bb.694:                              ;   in Loop: Header=BB1_2 Depth=1
	s_or_b32 exec_lo, exec_lo, s81
.LBB1_695:                              ;   in Loop: Header=BB1_2 Depth=1
	s_and_not1_saveexec_b32 s80, s80
; %bb.696:                              ;   in Loop: Header=BB1_2 Depth=1
	s_delay_alu instid0(VALU_DEP_1)
	v_add_nc_u32_e32 v9, 0x480000, v9
; %bb.697:                              ;   in Loop: Header=BB1_2 Depth=1
	s_or_b32 exec_lo, exec_lo, s80
.LBB1_698:                              ;   in Loop: Header=BB1_2 Depth=1
	s_and_not1_saveexec_b32 s79, s79
; %bb.699:                              ;   in Loop: Header=BB1_2 Depth=1
	s_delay_alu instid0(VALU_DEP_1)
	v_add_nc_u32_e32 v9, 0x4c0000, v9
; %bb.700:                              ;   in Loop: Header=BB1_2 Depth=1
	s_or_b32 exec_lo, exec_lo, s79
.LBB1_701:                              ;   in Loop: Header=BB1_2 Depth=1
	s_and_not1_saveexec_b32 s78, s78
; %bb.702:                              ;   in Loop: Header=BB1_2 Depth=1
	s_delay_alu instid0(VALU_DEP_1)
	v_add_nc_u32_e32 v9, 0x500000, v9
; %bb.703:                              ;   in Loop: Header=BB1_2 Depth=1
	s_or_b32 exec_lo, exec_lo, s78
.LBB1_704:                              ;   in Loop: Header=BB1_2 Depth=1
	s_and_not1_saveexec_b32 s77, s77
; %bb.705:                              ;   in Loop: Header=BB1_2 Depth=1
	s_delay_alu instid0(VALU_DEP_1)
	v_add_nc_u32_e32 v9, 0x540000, v9
; %bb.706:                              ;   in Loop: Header=BB1_2 Depth=1
	s_or_b32 exec_lo, exec_lo, s77
.LBB1_707:                              ;   in Loop: Header=BB1_2 Depth=1
	s_and_not1_saveexec_b32 s76, s76
; %bb.708:                              ;   in Loop: Header=BB1_2 Depth=1
	s_delay_alu instid0(VALU_DEP_1)
	v_add_nc_u32_e32 v9, 0x580000, v9
; %bb.709:                              ;   in Loop: Header=BB1_2 Depth=1
	s_or_b32 exec_lo, exec_lo, s76
.LBB1_710:                              ;   in Loop: Header=BB1_2 Depth=1
	s_and_not1_saveexec_b32 s75, s75
; %bb.711:                              ;   in Loop: Header=BB1_2 Depth=1
	s_delay_alu instid0(VALU_DEP_1)
	v_add_nc_u32_e32 v9, 0x5c0000, v9
; %bb.712:                              ;   in Loop: Header=BB1_2 Depth=1
	s_or_b32 exec_lo, exec_lo, s75
.LBB1_713:                              ;   in Loop: Header=BB1_2 Depth=1
	s_and_not1_saveexec_b32 s74, s74
; %bb.714:                              ;   in Loop: Header=BB1_2 Depth=1
	s_delay_alu instid0(VALU_DEP_1)
	v_add_nc_u32_e32 v9, 0x600000, v9
; %bb.715:                              ;   in Loop: Header=BB1_2 Depth=1
	s_or_b32 exec_lo, exec_lo, s74
.LBB1_716:                              ;   in Loop: Header=BB1_2 Depth=1
	s_and_not1_saveexec_b32 s73, s73
; %bb.717:                              ;   in Loop: Header=BB1_2 Depth=1
	s_delay_alu instid0(VALU_DEP_1)
	v_add_nc_u32_e32 v9, 0x640000, v9
; %bb.718:                              ;   in Loop: Header=BB1_2 Depth=1
	s_or_b32 exec_lo, exec_lo, s73
.LBB1_719:                              ;   in Loop: Header=BB1_2 Depth=1
	s_and_not1_saveexec_b32 s72, s72
; %bb.720:                              ;   in Loop: Header=BB1_2 Depth=1
	s_delay_alu instid0(VALU_DEP_1)
	v_add_nc_u32_e32 v9, 0x680000, v9
; %bb.721:                              ;   in Loop: Header=BB1_2 Depth=1
	s_or_b32 exec_lo, exec_lo, s72
.LBB1_722:                              ;   in Loop: Header=BB1_2 Depth=1
	s_and_not1_saveexec_b32 s35, s35
; %bb.723:                              ;   in Loop: Header=BB1_2 Depth=1
	s_delay_alu instid0(VALU_DEP_1)
	v_add_nc_u32_e32 v9, 0x6c0000, v9
; %bb.724:                              ;   in Loop: Header=BB1_2 Depth=1
	s_or_b32 exec_lo, exec_lo, s35
.LBB1_725:                              ;   in Loop: Header=BB1_2 Depth=1
	s_and_not1_saveexec_b32 s34, s34
; %bb.726:                              ;   in Loop: Header=BB1_2 Depth=1
	s_delay_alu instid0(VALU_DEP_1)
	v_add_nc_u32_e32 v9, 0x700000, v9
; %bb.727:                              ;   in Loop: Header=BB1_2 Depth=1
	s_or_b32 exec_lo, exec_lo, s34
.LBB1_728:                              ;   in Loop: Header=BB1_2 Depth=1
	s_and_not1_saveexec_b32 s33, s33
; %bb.729:                              ;   in Loop: Header=BB1_2 Depth=1
	s_delay_alu instid0(VALU_DEP_1)
	v_add_nc_u32_e32 v9, 0x740000, v9
; %bb.730:                              ;   in Loop: Header=BB1_2 Depth=1
	s_or_b32 exec_lo, exec_lo, s33
.LBB1_731:                              ;   in Loop: Header=BB1_2 Depth=1
	s_and_not1_saveexec_b32 s31, s31
; %bb.732:                              ;   in Loop: Header=BB1_2 Depth=1
	s_delay_alu instid0(VALU_DEP_1)
	v_add_nc_u32_e32 v9, 0x780000, v9
; %bb.733:                              ;   in Loop: Header=BB1_2 Depth=1
	s_or_b32 exec_lo, exec_lo, s31
.LBB1_734:                              ;   in Loop: Header=BB1_2 Depth=1
	s_and_not1_saveexec_b32 s30, s30
; %bb.735:                              ;   in Loop: Header=BB1_2 Depth=1
	s_delay_alu instid0(VALU_DEP_1)
	v_add_nc_u32_e32 v9, 0x7c0000, v9
; %bb.736:                              ;   in Loop: Header=BB1_2 Depth=1
	s_or_b32 exec_lo, exec_lo, s30
	v_mov_b32_e32 v0, s1
	s_mov_b32 s30, exec_lo
	ds_load_2addr_b64 v[10:13], v0 offset0:21 offset1:22
	ds_load_b64 v[14:15], v0 offset:184
	s_wait_dscnt 0x1
	v_mul_f64_e32 v[0:1], v[4:5], v[12:13]
	s_delay_alu instid0(VALU_DEP_1) | instskip(SKIP_1) | instid1(VALU_DEP_1)
	v_fmac_f64_e32 v[0:1], v[2:3], v[10:11]
	s_wait_dscnt 0x0
	v_fmac_f64_e32 v[0:1], v[6:7], v[14:15]
	s_delay_alu instid0(VALU_DEP_1)
	v_cmpx_ngt_f64_e32 s[28:29], v[0:1]
	s_xor_b32 s30, exec_lo, s30
	s_cbranch_execz .LBB1_856
; %bb.737:                              ;   in Loop: Header=BB1_2 Depth=1
	s_mov_b32 s31, exec_lo
	v_cmpx_ngt_f64_e32 s[70:71], v[0:1]
	s_xor_b32 s31, exec_lo, s31
	s_cbranch_execz .LBB1_853
; %bb.738:                              ;   in Loop: Header=BB1_2 Depth=1
	s_mov_b32 s33, exec_lo
	;; [unrolled: 5-line block ×30, first 2 shown]
	v_cmpx_gt_f64_e32 s[52:53], v[0:1]
; %bb.767:                              ;   in Loop: Header=BB1_2 Depth=1
	v_add_nc_u32_e32 v9, 0x4000000, v9
; %bb.768:                              ;   in Loop: Header=BB1_2 Depth=1
	s_or_b32 exec_lo, exec_lo, s97
.LBB1_769:                              ;   in Loop: Header=BB1_2 Depth=1
	s_and_not1_saveexec_b32 s96, s96
; %bb.770:                              ;   in Loop: Header=BB1_2 Depth=1
	s_delay_alu instid0(VALU_DEP_1)
	v_add_nc_u32_e32 v9, 0x8000000, v9
; %bb.771:                              ;   in Loop: Header=BB1_2 Depth=1
	s_or_b32 exec_lo, exec_lo, s96
.LBB1_772:                              ;   in Loop: Header=BB1_2 Depth=1
	s_and_not1_saveexec_b32 s95, s95
; %bb.773:                              ;   in Loop: Header=BB1_2 Depth=1
	s_delay_alu instid0(VALU_DEP_1)
	v_add_nc_u32_e32 v9, 0xc000000, v9
; %bb.774:                              ;   in Loop: Header=BB1_2 Depth=1
	s_or_b32 exec_lo, exec_lo, s95
.LBB1_775:                              ;   in Loop: Header=BB1_2 Depth=1
	s_and_not1_saveexec_b32 s94, s94
; %bb.776:                              ;   in Loop: Header=BB1_2 Depth=1
	s_delay_alu instid0(VALU_DEP_1)
	v_add_nc_u32_e32 v9, 0x10000000, v9
; %bb.777:                              ;   in Loop: Header=BB1_2 Depth=1
	s_or_b32 exec_lo, exec_lo, s94
.LBB1_778:                              ;   in Loop: Header=BB1_2 Depth=1
	s_and_not1_saveexec_b32 s93, s93
; %bb.779:                              ;   in Loop: Header=BB1_2 Depth=1
	s_delay_alu instid0(VALU_DEP_1)
	v_add_nc_u32_e32 v9, 0x14000000, v9
; %bb.780:                              ;   in Loop: Header=BB1_2 Depth=1
	s_or_b32 exec_lo, exec_lo, s93
.LBB1_781:                              ;   in Loop: Header=BB1_2 Depth=1
	s_and_not1_saveexec_b32 s92, s92
; %bb.782:                              ;   in Loop: Header=BB1_2 Depth=1
	s_delay_alu instid0(VALU_DEP_1)
	v_add_nc_u32_e32 v9, 0x18000000, v9
; %bb.783:                              ;   in Loop: Header=BB1_2 Depth=1
	s_or_b32 exec_lo, exec_lo, s92
.LBB1_784:                              ;   in Loop: Header=BB1_2 Depth=1
	s_and_not1_saveexec_b32 s91, s91
; %bb.785:                              ;   in Loop: Header=BB1_2 Depth=1
	s_delay_alu instid0(VALU_DEP_1)
	v_add_nc_u32_e32 v9, 0x1c000000, v9
; %bb.786:                              ;   in Loop: Header=BB1_2 Depth=1
	s_or_b32 exec_lo, exec_lo, s91
.LBB1_787:                              ;   in Loop: Header=BB1_2 Depth=1
	s_and_not1_saveexec_b32 s90, s90
; %bb.788:                              ;   in Loop: Header=BB1_2 Depth=1
	s_delay_alu instid0(VALU_DEP_1)
	v_add_nc_u32_e32 v9, 0x20000000, v9
; %bb.789:                              ;   in Loop: Header=BB1_2 Depth=1
	s_or_b32 exec_lo, exec_lo, s90
.LBB1_790:                              ;   in Loop: Header=BB1_2 Depth=1
	s_and_not1_saveexec_b32 s89, s89
; %bb.791:                              ;   in Loop: Header=BB1_2 Depth=1
	s_delay_alu instid0(VALU_DEP_1)
	v_add_nc_u32_e32 v9, 0x24000000, v9
; %bb.792:                              ;   in Loop: Header=BB1_2 Depth=1
	s_or_b32 exec_lo, exec_lo, s89
.LBB1_793:                              ;   in Loop: Header=BB1_2 Depth=1
	s_and_not1_saveexec_b32 s88, s88
; %bb.794:                              ;   in Loop: Header=BB1_2 Depth=1
	s_delay_alu instid0(VALU_DEP_1)
	v_add_nc_u32_e32 v9, 0x28000000, v9
; %bb.795:                              ;   in Loop: Header=BB1_2 Depth=1
	s_or_b32 exec_lo, exec_lo, s88
.LBB1_796:                              ;   in Loop: Header=BB1_2 Depth=1
	s_and_not1_saveexec_b32 s87, s87
; %bb.797:                              ;   in Loop: Header=BB1_2 Depth=1
	s_delay_alu instid0(VALU_DEP_1)
	v_add_nc_u32_e32 v9, 0x2c000000, v9
; %bb.798:                              ;   in Loop: Header=BB1_2 Depth=1
	s_or_b32 exec_lo, exec_lo, s87
.LBB1_799:                              ;   in Loop: Header=BB1_2 Depth=1
	s_and_not1_saveexec_b32 s86, s86
; %bb.800:                              ;   in Loop: Header=BB1_2 Depth=1
	s_delay_alu instid0(VALU_DEP_1)
	v_add_nc_u32_e32 v9, 0x30000000, v9
; %bb.801:                              ;   in Loop: Header=BB1_2 Depth=1
	s_or_b32 exec_lo, exec_lo, s86
.LBB1_802:                              ;   in Loop: Header=BB1_2 Depth=1
	s_and_not1_saveexec_b32 s85, s85
; %bb.803:                              ;   in Loop: Header=BB1_2 Depth=1
	s_delay_alu instid0(VALU_DEP_1)
	v_add_nc_u32_e32 v9, 0x34000000, v9
; %bb.804:                              ;   in Loop: Header=BB1_2 Depth=1
	s_or_b32 exec_lo, exec_lo, s85
.LBB1_805:                              ;   in Loop: Header=BB1_2 Depth=1
	s_and_not1_saveexec_b32 s84, s84
; %bb.806:                              ;   in Loop: Header=BB1_2 Depth=1
	s_delay_alu instid0(VALU_DEP_1)
	v_add_nc_u32_e32 v9, 0x38000000, v9
; %bb.807:                              ;   in Loop: Header=BB1_2 Depth=1
	s_or_b32 exec_lo, exec_lo, s84
.LBB1_808:                              ;   in Loop: Header=BB1_2 Depth=1
	s_and_not1_saveexec_b32 s83, s83
; %bb.809:                              ;   in Loop: Header=BB1_2 Depth=1
	s_delay_alu instid0(VALU_DEP_1)
	v_add_nc_u32_e32 v9, 0x3c000000, v9
; %bb.810:                              ;   in Loop: Header=BB1_2 Depth=1
	s_or_b32 exec_lo, exec_lo, s83
.LBB1_811:                              ;   in Loop: Header=BB1_2 Depth=1
	s_and_not1_saveexec_b32 s82, s82
; %bb.812:                              ;   in Loop: Header=BB1_2 Depth=1
	s_delay_alu instid0(VALU_DEP_1)
	v_add_nc_u32_e32 v9, 2.0, v9
; %bb.813:                              ;   in Loop: Header=BB1_2 Depth=1
	s_or_b32 exec_lo, exec_lo, s82
.LBB1_814:                              ;   in Loop: Header=BB1_2 Depth=1
	s_and_not1_saveexec_b32 s81, s81
; %bb.815:                              ;   in Loop: Header=BB1_2 Depth=1
	s_delay_alu instid0(VALU_DEP_1)
	v_add_nc_u32_e32 v9, 0x44000000, v9
; %bb.816:                              ;   in Loop: Header=BB1_2 Depth=1
	s_or_b32 exec_lo, exec_lo, s81
.LBB1_817:                              ;   in Loop: Header=BB1_2 Depth=1
	s_and_not1_saveexec_b32 s80, s80
; %bb.818:                              ;   in Loop: Header=BB1_2 Depth=1
	s_delay_alu instid0(VALU_DEP_1)
	v_add_nc_u32_e32 v9, 0x48000000, v9
; %bb.819:                              ;   in Loop: Header=BB1_2 Depth=1
	s_or_b32 exec_lo, exec_lo, s80
.LBB1_820:                              ;   in Loop: Header=BB1_2 Depth=1
	s_and_not1_saveexec_b32 s79, s79
; %bb.821:                              ;   in Loop: Header=BB1_2 Depth=1
	s_delay_alu instid0(VALU_DEP_1)
	v_add_nc_u32_e32 v9, 0x4c000000, v9
; %bb.822:                              ;   in Loop: Header=BB1_2 Depth=1
	s_or_b32 exec_lo, exec_lo, s79
.LBB1_823:                              ;   in Loop: Header=BB1_2 Depth=1
	s_and_not1_saveexec_b32 s78, s78
; %bb.824:                              ;   in Loop: Header=BB1_2 Depth=1
	s_delay_alu instid0(VALU_DEP_1)
	v_add_nc_u32_e32 v9, 0x50000000, v9
; %bb.825:                              ;   in Loop: Header=BB1_2 Depth=1
	s_or_b32 exec_lo, exec_lo, s78
.LBB1_826:                              ;   in Loop: Header=BB1_2 Depth=1
	s_and_not1_saveexec_b32 s77, s77
; %bb.827:                              ;   in Loop: Header=BB1_2 Depth=1
	s_delay_alu instid0(VALU_DEP_1)
	v_add_nc_u32_e32 v9, 0x54000000, v9
; %bb.828:                              ;   in Loop: Header=BB1_2 Depth=1
	s_or_b32 exec_lo, exec_lo, s77
.LBB1_829:                              ;   in Loop: Header=BB1_2 Depth=1
	s_and_not1_saveexec_b32 s76, s76
; %bb.830:                              ;   in Loop: Header=BB1_2 Depth=1
	s_delay_alu instid0(VALU_DEP_1)
	v_add_nc_u32_e32 v9, 0x58000000, v9
; %bb.831:                              ;   in Loop: Header=BB1_2 Depth=1
	s_or_b32 exec_lo, exec_lo, s76
.LBB1_832:                              ;   in Loop: Header=BB1_2 Depth=1
	s_and_not1_saveexec_b32 s75, s75
; %bb.833:                              ;   in Loop: Header=BB1_2 Depth=1
	s_delay_alu instid0(VALU_DEP_1)
	v_add_nc_u32_e32 v9, 0x5c000000, v9
; %bb.834:                              ;   in Loop: Header=BB1_2 Depth=1
	s_or_b32 exec_lo, exec_lo, s75
.LBB1_835:                              ;   in Loop: Header=BB1_2 Depth=1
	s_and_not1_saveexec_b32 s74, s74
; %bb.836:                              ;   in Loop: Header=BB1_2 Depth=1
	s_delay_alu instid0(VALU_DEP_1)
	v_add_nc_u32_e32 v9, 0x60000000, v9
; %bb.837:                              ;   in Loop: Header=BB1_2 Depth=1
	s_or_b32 exec_lo, exec_lo, s74
.LBB1_838:                              ;   in Loop: Header=BB1_2 Depth=1
	s_and_not1_saveexec_b32 s73, s73
; %bb.839:                              ;   in Loop: Header=BB1_2 Depth=1
	s_delay_alu instid0(VALU_DEP_1)
	v_add_nc_u32_e32 v9, 0x64000000, v9
; %bb.840:                              ;   in Loop: Header=BB1_2 Depth=1
	s_or_b32 exec_lo, exec_lo, s73
.LBB1_841:                              ;   in Loop: Header=BB1_2 Depth=1
	s_and_not1_saveexec_b32 s72, s72
; %bb.842:                              ;   in Loop: Header=BB1_2 Depth=1
	s_delay_alu instid0(VALU_DEP_1)
	v_add_nc_u32_e32 v9, 0x68000000, v9
; %bb.843:                              ;   in Loop: Header=BB1_2 Depth=1
	s_or_b32 exec_lo, exec_lo, s72
.LBB1_844:                              ;   in Loop: Header=BB1_2 Depth=1
	s_and_not1_saveexec_b32 s35, s35
; %bb.845:                              ;   in Loop: Header=BB1_2 Depth=1
	s_delay_alu instid0(VALU_DEP_1)
	v_add_nc_u32_e32 v9, 0x6c000000, v9
; %bb.846:                              ;   in Loop: Header=BB1_2 Depth=1
	s_or_b32 exec_lo, exec_lo, s35
.LBB1_847:                              ;   in Loop: Header=BB1_2 Depth=1
	s_and_not1_saveexec_b32 s34, s34
; %bb.848:                              ;   in Loop: Header=BB1_2 Depth=1
	s_delay_alu instid0(VALU_DEP_1)
	v_add_nc_u32_e32 v9, 0x70000000, v9
; %bb.849:                              ;   in Loop: Header=BB1_2 Depth=1
	s_or_b32 exec_lo, exec_lo, s34
.LBB1_850:                              ;   in Loop: Header=BB1_2 Depth=1
	s_and_not1_saveexec_b32 s33, s33
; %bb.851:                              ;   in Loop: Header=BB1_2 Depth=1
	s_delay_alu instid0(VALU_DEP_1)
	v_add_nc_u32_e32 v9, 0x74000000, v9
; %bb.852:                              ;   in Loop: Header=BB1_2 Depth=1
	s_or_b32 exec_lo, exec_lo, s33
.LBB1_853:                              ;   in Loop: Header=BB1_2 Depth=1
	s_and_not1_saveexec_b32 s31, s31
; %bb.854:                              ;   in Loop: Header=BB1_2 Depth=1
	s_delay_alu instid0(VALU_DEP_1)
	v_add_nc_u32_e32 v9, 0x78000000, v9
; %bb.855:                              ;   in Loop: Header=BB1_2 Depth=1
	s_or_b32 exec_lo, exec_lo, s31
.LBB1_856:                              ;   in Loop: Header=BB1_2 Depth=1
	s_and_not1_saveexec_b32 s30, s30
; %bb.857:                              ;   in Loop: Header=BB1_2 Depth=1
	s_delay_alu instid0(VALU_DEP_1)
	v_add_nc_u32_e32 v9, 0x7c000000, v9
; %bb.858:                              ;   in Loop: Header=BB1_2 Depth=1
	s_or_b32 exec_lo, exec_lo, s30
	v_mov_b32_e32 v0, s1
	s_lshl_b32 s30, s0, 12
	s_mov_b32 s31, exec_lo
	ds_load_2addr_b64 v[10:13], v0 offset0:24 offset1:25
	ds_load_b64 v[14:15], v0 offset:208
	s_wait_dscnt 0x1
	v_mul_f64_e32 v[0:1], v[4:5], v[12:13]
	s_delay_alu instid0(VALU_DEP_1)
	v_fmac_f64_e32 v[0:1], v[2:3], v[10:11]
	v_add3_u32 v11, v8, s30, 0x4000
	v_mov_b32_e32 v10, 0x7c
	global_store_b32 v11, v9, s[2:3] scale_offset
	s_wait_dscnt 0x0
	v_fmac_f64_e32 v[0:1], v[6:7], v[14:15]
	s_wait_xcnt 0x0
	s_delay_alu instid0(VALU_DEP_1)
	v_cmpx_ngt_f64_e32 s[28:29], v[0:1]
	s_cbranch_execz .LBB1_920
; %bb.859:                              ;   in Loop: Header=BB1_2 Depth=1
	v_mov_b32_e32 v10, 0x78
	s_mov_b32 s33, exec_lo
	v_cmpx_ngt_f64_e32 s[70:71], v[0:1]
	s_cbranch_execz .LBB1_919
; %bb.860:                              ;   in Loop: Header=BB1_2 Depth=1
	v_mov_b32_e32 v10, 0x74
	s_mov_b32 s34, exec_lo
	;; [unrolled: 5-line block ×30, first 2 shown]
	v_cmpx_gt_f64_e32 s[52:53], v[0:1]
; %bb.889:                              ;   in Loop: Header=BB1_2 Depth=1
	v_mov_b32_e32 v10, 4
; %bb.890:                              ;   in Loop: Header=BB1_2 Depth=1
	s_or_b32 exec_lo, exec_lo, s98
.LBB1_891:                              ;   in Loop: Header=BB1_2 Depth=1
	s_delay_alu instid0(SALU_CYCLE_1)
	s_or_b32 exec_lo, exec_lo, s97
.LBB1_892:                              ;   in Loop: Header=BB1_2 Depth=1
	s_delay_alu instid0(SALU_CYCLE_1)
	s_or_b32 exec_lo, exec_lo, s96
.LBB1_893:                              ;   in Loop: Header=BB1_2 Depth=1
	s_delay_alu instid0(SALU_CYCLE_1)
	s_or_b32 exec_lo, exec_lo, s95
.LBB1_894:                              ;   in Loop: Header=BB1_2 Depth=1
	s_delay_alu instid0(SALU_CYCLE_1)
	s_or_b32 exec_lo, exec_lo, s94
.LBB1_895:                              ;   in Loop: Header=BB1_2 Depth=1
	s_delay_alu instid0(SALU_CYCLE_1)
	s_or_b32 exec_lo, exec_lo, s93
.LBB1_896:                              ;   in Loop: Header=BB1_2 Depth=1
	s_delay_alu instid0(SALU_CYCLE_1)
	s_or_b32 exec_lo, exec_lo, s92
.LBB1_897:                              ;   in Loop: Header=BB1_2 Depth=1
	s_delay_alu instid0(SALU_CYCLE_1)
	s_or_b32 exec_lo, exec_lo, s91
.LBB1_898:                              ;   in Loop: Header=BB1_2 Depth=1
	s_delay_alu instid0(SALU_CYCLE_1)
	s_or_b32 exec_lo, exec_lo, s90
.LBB1_899:                              ;   in Loop: Header=BB1_2 Depth=1
	s_delay_alu instid0(SALU_CYCLE_1)
	s_or_b32 exec_lo, exec_lo, s89
.LBB1_900:                              ;   in Loop: Header=BB1_2 Depth=1
	s_delay_alu instid0(SALU_CYCLE_1)
	s_or_b32 exec_lo, exec_lo, s88
.LBB1_901:                              ;   in Loop: Header=BB1_2 Depth=1
	s_delay_alu instid0(SALU_CYCLE_1)
	s_or_b32 exec_lo, exec_lo, s87
.LBB1_902:                              ;   in Loop: Header=BB1_2 Depth=1
	s_delay_alu instid0(SALU_CYCLE_1)
	s_or_b32 exec_lo, exec_lo, s86
.LBB1_903:                              ;   in Loop: Header=BB1_2 Depth=1
	s_delay_alu instid0(SALU_CYCLE_1)
	s_or_b32 exec_lo, exec_lo, s85
.LBB1_904:                              ;   in Loop: Header=BB1_2 Depth=1
	s_delay_alu instid0(SALU_CYCLE_1)
	s_or_b32 exec_lo, exec_lo, s84
.LBB1_905:                              ;   in Loop: Header=BB1_2 Depth=1
	s_delay_alu instid0(SALU_CYCLE_1)
	s_or_b32 exec_lo, exec_lo, s83
.LBB1_906:                              ;   in Loop: Header=BB1_2 Depth=1
	s_delay_alu instid0(SALU_CYCLE_1)
	s_or_b32 exec_lo, exec_lo, s82
.LBB1_907:                              ;   in Loop: Header=BB1_2 Depth=1
	s_delay_alu instid0(SALU_CYCLE_1)
	s_or_b32 exec_lo, exec_lo, s81
.LBB1_908:                              ;   in Loop: Header=BB1_2 Depth=1
	s_delay_alu instid0(SALU_CYCLE_1)
	s_or_b32 exec_lo, exec_lo, s80
.LBB1_909:                              ;   in Loop: Header=BB1_2 Depth=1
	s_delay_alu instid0(SALU_CYCLE_1)
	s_or_b32 exec_lo, exec_lo, s79
.LBB1_910:                              ;   in Loop: Header=BB1_2 Depth=1
	s_delay_alu instid0(SALU_CYCLE_1)
	s_or_b32 exec_lo, exec_lo, s78
.LBB1_911:                              ;   in Loop: Header=BB1_2 Depth=1
	s_delay_alu instid0(SALU_CYCLE_1)
	s_or_b32 exec_lo, exec_lo, s77
.LBB1_912:                              ;   in Loop: Header=BB1_2 Depth=1
	s_delay_alu instid0(SALU_CYCLE_1)
	s_or_b32 exec_lo, exec_lo, s76
.LBB1_913:                              ;   in Loop: Header=BB1_2 Depth=1
	s_delay_alu instid0(SALU_CYCLE_1)
	s_or_b32 exec_lo, exec_lo, s75
.LBB1_914:                              ;   in Loop: Header=BB1_2 Depth=1
	s_delay_alu instid0(SALU_CYCLE_1)
	s_or_b32 exec_lo, exec_lo, s74
.LBB1_915:                              ;   in Loop: Header=BB1_2 Depth=1
	s_delay_alu instid0(SALU_CYCLE_1)
	s_or_b32 exec_lo, exec_lo, s73
.LBB1_916:                              ;   in Loop: Header=BB1_2 Depth=1
	s_delay_alu instid0(SALU_CYCLE_1)
	s_or_b32 exec_lo, exec_lo, s72
.LBB1_917:                              ;   in Loop: Header=BB1_2 Depth=1
	s_delay_alu instid0(SALU_CYCLE_1)
	s_or_b32 exec_lo, exec_lo, s35
.LBB1_918:                              ;   in Loop: Header=BB1_2 Depth=1
	s_delay_alu instid0(SALU_CYCLE_1)
	s_or_b32 exec_lo, exec_lo, s34
.LBB1_919:                              ;   in Loop: Header=BB1_2 Depth=1
	s_delay_alu instid0(SALU_CYCLE_1)
	s_or_b32 exec_lo, exec_lo, s33
.LBB1_920:                              ;   in Loop: Header=BB1_2 Depth=1
	s_delay_alu instid0(SALU_CYCLE_1)
	s_or_b32 exec_lo, exec_lo, s31
	v_mov_b32_e32 v0, s1
	s_mov_b32 s31, exec_lo
	ds_load_2addr_b64 v[12:15], v0 offset0:27 offset1:28
	ds_load_b64 v[16:17], v0 offset:232
	s_wait_dscnt 0x1
	v_mul_f64_e32 v[0:1], v[4:5], v[14:15]
	s_delay_alu instid0(VALU_DEP_1) | instskip(SKIP_1) | instid1(VALU_DEP_1)
	v_fmac_f64_e32 v[0:1], v[2:3], v[12:13]
	s_wait_dscnt 0x0
	v_fmac_f64_e32 v[0:1], v[6:7], v[16:17]
	s_delay_alu instid0(VALU_DEP_1)
	v_cmpx_ngt_f64_e32 s[28:29], v[0:1]
	s_xor_b32 s31, exec_lo, s31
	s_cbranch_execz .LBB1_1040
; %bb.921:                              ;   in Loop: Header=BB1_2 Depth=1
	s_mov_b32 s33, exec_lo
	v_cmpx_ngt_f64_e32 s[70:71], v[0:1]
	s_xor_b32 s33, exec_lo, s33
	s_cbranch_execz .LBB1_1037
; %bb.922:                              ;   in Loop: Header=BB1_2 Depth=1
	s_mov_b32 s34, exec_lo
	;; [unrolled: 5-line block ×30, first 2 shown]
	v_cmpx_gt_f64_e32 s[52:53], v[0:1]
; %bb.951:                              ;   in Loop: Header=BB1_2 Depth=1
	v_or_b32_e32 v10, 0x400, v10
; %bb.952:                              ;   in Loop: Header=BB1_2 Depth=1
	s_or_b32 exec_lo, exec_lo, s98
.LBB1_953:                              ;   in Loop: Header=BB1_2 Depth=1
	s_and_not1_saveexec_b32 s97, s97
; %bb.954:                              ;   in Loop: Header=BB1_2 Depth=1
	s_delay_alu instid0(VALU_DEP_1)
	v_or_b32_e32 v10, 0x800, v10
; %bb.955:                              ;   in Loop: Header=BB1_2 Depth=1
	s_or_b32 exec_lo, exec_lo, s97
.LBB1_956:                              ;   in Loop: Header=BB1_2 Depth=1
	s_and_not1_saveexec_b32 s96, s96
; %bb.957:                              ;   in Loop: Header=BB1_2 Depth=1
	s_delay_alu instid0(VALU_DEP_1)
	v_or_b32_e32 v10, 0xc00, v10
; %bb.958:                              ;   in Loop: Header=BB1_2 Depth=1
	s_or_b32 exec_lo, exec_lo, s96
.LBB1_959:                              ;   in Loop: Header=BB1_2 Depth=1
	s_and_not1_saveexec_b32 s95, s95
; %bb.960:                              ;   in Loop: Header=BB1_2 Depth=1
	s_delay_alu instid0(VALU_DEP_1)
	v_or_b32_e32 v10, 0x1000, v10
; %bb.961:                              ;   in Loop: Header=BB1_2 Depth=1
	s_or_b32 exec_lo, exec_lo, s95
.LBB1_962:                              ;   in Loop: Header=BB1_2 Depth=1
	s_and_not1_saveexec_b32 s94, s94
; %bb.963:                              ;   in Loop: Header=BB1_2 Depth=1
	s_delay_alu instid0(VALU_DEP_1)
	v_or_b32_e32 v10, 0x1400, v10
; %bb.964:                              ;   in Loop: Header=BB1_2 Depth=1
	s_or_b32 exec_lo, exec_lo, s94
.LBB1_965:                              ;   in Loop: Header=BB1_2 Depth=1
	s_and_not1_saveexec_b32 s93, s93
; %bb.966:                              ;   in Loop: Header=BB1_2 Depth=1
	s_delay_alu instid0(VALU_DEP_1)
	v_or_b32_e32 v10, 0x1800, v10
; %bb.967:                              ;   in Loop: Header=BB1_2 Depth=1
	s_or_b32 exec_lo, exec_lo, s93
.LBB1_968:                              ;   in Loop: Header=BB1_2 Depth=1
	s_and_not1_saveexec_b32 s92, s92
; %bb.969:                              ;   in Loop: Header=BB1_2 Depth=1
	s_delay_alu instid0(VALU_DEP_1)
	v_or_b32_e32 v10, 0x1c00, v10
; %bb.970:                              ;   in Loop: Header=BB1_2 Depth=1
	s_or_b32 exec_lo, exec_lo, s92
.LBB1_971:                              ;   in Loop: Header=BB1_2 Depth=1
	s_and_not1_saveexec_b32 s91, s91
; %bb.972:                              ;   in Loop: Header=BB1_2 Depth=1
	s_delay_alu instid0(VALU_DEP_1)
	v_or_b32_e32 v10, 0x2000, v10
; %bb.973:                              ;   in Loop: Header=BB1_2 Depth=1
	s_or_b32 exec_lo, exec_lo, s91
.LBB1_974:                              ;   in Loop: Header=BB1_2 Depth=1
	s_and_not1_saveexec_b32 s90, s90
; %bb.975:                              ;   in Loop: Header=BB1_2 Depth=1
	s_delay_alu instid0(VALU_DEP_1)
	v_or_b32_e32 v10, 0x2400, v10
; %bb.976:                              ;   in Loop: Header=BB1_2 Depth=1
	s_or_b32 exec_lo, exec_lo, s90
.LBB1_977:                              ;   in Loop: Header=BB1_2 Depth=1
	s_and_not1_saveexec_b32 s89, s89
; %bb.978:                              ;   in Loop: Header=BB1_2 Depth=1
	s_delay_alu instid0(VALU_DEP_1)
	v_or_b32_e32 v10, 0x2800, v10
; %bb.979:                              ;   in Loop: Header=BB1_2 Depth=1
	s_or_b32 exec_lo, exec_lo, s89
.LBB1_980:                              ;   in Loop: Header=BB1_2 Depth=1
	s_and_not1_saveexec_b32 s88, s88
; %bb.981:                              ;   in Loop: Header=BB1_2 Depth=1
	s_delay_alu instid0(VALU_DEP_1)
	v_or_b32_e32 v10, 0x2c00, v10
; %bb.982:                              ;   in Loop: Header=BB1_2 Depth=1
	s_or_b32 exec_lo, exec_lo, s88
.LBB1_983:                              ;   in Loop: Header=BB1_2 Depth=1
	s_and_not1_saveexec_b32 s87, s87
; %bb.984:                              ;   in Loop: Header=BB1_2 Depth=1
	s_delay_alu instid0(VALU_DEP_1)
	v_or_b32_e32 v10, 0x3000, v10
; %bb.985:                              ;   in Loop: Header=BB1_2 Depth=1
	s_or_b32 exec_lo, exec_lo, s87
.LBB1_986:                              ;   in Loop: Header=BB1_2 Depth=1
	s_and_not1_saveexec_b32 s86, s86
; %bb.987:                              ;   in Loop: Header=BB1_2 Depth=1
	s_delay_alu instid0(VALU_DEP_1)
	v_or_b32_e32 v10, 0x3400, v10
; %bb.988:                              ;   in Loop: Header=BB1_2 Depth=1
	s_or_b32 exec_lo, exec_lo, s86
.LBB1_989:                              ;   in Loop: Header=BB1_2 Depth=1
	s_and_not1_saveexec_b32 s85, s85
; %bb.990:                              ;   in Loop: Header=BB1_2 Depth=1
	s_delay_alu instid0(VALU_DEP_1)
	v_or_b32_e32 v10, 0x3800, v10
; %bb.991:                              ;   in Loop: Header=BB1_2 Depth=1
	s_or_b32 exec_lo, exec_lo, s85
.LBB1_992:                              ;   in Loop: Header=BB1_2 Depth=1
	s_and_not1_saveexec_b32 s84, s84
; %bb.993:                              ;   in Loop: Header=BB1_2 Depth=1
	s_delay_alu instid0(VALU_DEP_1)
	v_or_b32_e32 v10, 0x3c00, v10
; %bb.994:                              ;   in Loop: Header=BB1_2 Depth=1
	s_or_b32 exec_lo, exec_lo, s84
.LBB1_995:                              ;   in Loop: Header=BB1_2 Depth=1
	s_and_not1_saveexec_b32 s83, s83
; %bb.996:                              ;   in Loop: Header=BB1_2 Depth=1
	s_delay_alu instid0(VALU_DEP_1)
	v_or_b32_e32 v10, 0x4000, v10
; %bb.997:                              ;   in Loop: Header=BB1_2 Depth=1
	s_or_b32 exec_lo, exec_lo, s83
.LBB1_998:                              ;   in Loop: Header=BB1_2 Depth=1
	s_and_not1_saveexec_b32 s82, s82
; %bb.999:                              ;   in Loop: Header=BB1_2 Depth=1
	s_delay_alu instid0(VALU_DEP_1)
	v_or_b32_e32 v10, 0x4400, v10
; %bb.1000:                             ;   in Loop: Header=BB1_2 Depth=1
	s_or_b32 exec_lo, exec_lo, s82
.LBB1_1001:                             ;   in Loop: Header=BB1_2 Depth=1
	s_and_not1_saveexec_b32 s81, s81
; %bb.1002:                             ;   in Loop: Header=BB1_2 Depth=1
	s_delay_alu instid0(VALU_DEP_1)
	v_or_b32_e32 v10, 0x4800, v10
; %bb.1003:                             ;   in Loop: Header=BB1_2 Depth=1
	s_or_b32 exec_lo, exec_lo, s81
.LBB1_1004:                             ;   in Loop: Header=BB1_2 Depth=1
	s_and_not1_saveexec_b32 s80, s80
; %bb.1005:                             ;   in Loop: Header=BB1_2 Depth=1
	s_delay_alu instid0(VALU_DEP_1)
	v_or_b32_e32 v10, 0x4c00, v10
; %bb.1006:                             ;   in Loop: Header=BB1_2 Depth=1
	s_or_b32 exec_lo, exec_lo, s80
.LBB1_1007:                             ;   in Loop: Header=BB1_2 Depth=1
	s_and_not1_saveexec_b32 s79, s79
; %bb.1008:                             ;   in Loop: Header=BB1_2 Depth=1
	s_delay_alu instid0(VALU_DEP_1)
	v_or_b32_e32 v10, 0x5000, v10
; %bb.1009:                             ;   in Loop: Header=BB1_2 Depth=1
	s_or_b32 exec_lo, exec_lo, s79
.LBB1_1010:                             ;   in Loop: Header=BB1_2 Depth=1
	s_and_not1_saveexec_b32 s78, s78
; %bb.1011:                             ;   in Loop: Header=BB1_2 Depth=1
	s_delay_alu instid0(VALU_DEP_1)
	v_or_b32_e32 v10, 0x5400, v10
; %bb.1012:                             ;   in Loop: Header=BB1_2 Depth=1
	s_or_b32 exec_lo, exec_lo, s78
.LBB1_1013:                             ;   in Loop: Header=BB1_2 Depth=1
	s_and_not1_saveexec_b32 s77, s77
; %bb.1014:                             ;   in Loop: Header=BB1_2 Depth=1
	s_delay_alu instid0(VALU_DEP_1)
	v_or_b32_e32 v10, 0x5800, v10
; %bb.1015:                             ;   in Loop: Header=BB1_2 Depth=1
	s_or_b32 exec_lo, exec_lo, s77
.LBB1_1016:                             ;   in Loop: Header=BB1_2 Depth=1
	s_and_not1_saveexec_b32 s76, s76
; %bb.1017:                             ;   in Loop: Header=BB1_2 Depth=1
	s_delay_alu instid0(VALU_DEP_1)
	v_or_b32_e32 v10, 0x5c00, v10
; %bb.1018:                             ;   in Loop: Header=BB1_2 Depth=1
	s_or_b32 exec_lo, exec_lo, s76
.LBB1_1019:                             ;   in Loop: Header=BB1_2 Depth=1
	s_and_not1_saveexec_b32 s75, s75
; %bb.1020:                             ;   in Loop: Header=BB1_2 Depth=1
	s_delay_alu instid0(VALU_DEP_1)
	v_or_b32_e32 v10, 0x6000, v10
; %bb.1021:                             ;   in Loop: Header=BB1_2 Depth=1
	s_or_b32 exec_lo, exec_lo, s75
.LBB1_1022:                             ;   in Loop: Header=BB1_2 Depth=1
	s_and_not1_saveexec_b32 s74, s74
; %bb.1023:                             ;   in Loop: Header=BB1_2 Depth=1
	s_delay_alu instid0(VALU_DEP_1)
	v_or_b32_e32 v10, 0x6400, v10
; %bb.1024:                             ;   in Loop: Header=BB1_2 Depth=1
	s_or_b32 exec_lo, exec_lo, s74
.LBB1_1025:                             ;   in Loop: Header=BB1_2 Depth=1
	s_and_not1_saveexec_b32 s73, s73
; %bb.1026:                             ;   in Loop: Header=BB1_2 Depth=1
	s_delay_alu instid0(VALU_DEP_1)
	v_or_b32_e32 v10, 0x6800, v10
; %bb.1027:                             ;   in Loop: Header=BB1_2 Depth=1
	s_or_b32 exec_lo, exec_lo, s73
.LBB1_1028:                             ;   in Loop: Header=BB1_2 Depth=1
	s_and_not1_saveexec_b32 s72, s72
; %bb.1029:                             ;   in Loop: Header=BB1_2 Depth=1
	s_delay_alu instid0(VALU_DEP_1)
	v_or_b32_e32 v10, 0x6c00, v10
; %bb.1030:                             ;   in Loop: Header=BB1_2 Depth=1
	s_or_b32 exec_lo, exec_lo, s72
.LBB1_1031:                             ;   in Loop: Header=BB1_2 Depth=1
	s_and_not1_saveexec_b32 s35, s35
; %bb.1032:                             ;   in Loop: Header=BB1_2 Depth=1
	s_delay_alu instid0(VALU_DEP_1)
	v_or_b32_e32 v10, 0x7000, v10
; %bb.1033:                             ;   in Loop: Header=BB1_2 Depth=1
	s_or_b32 exec_lo, exec_lo, s35
.LBB1_1034:                             ;   in Loop: Header=BB1_2 Depth=1
	s_and_not1_saveexec_b32 s34, s34
; %bb.1035:                             ;   in Loop: Header=BB1_2 Depth=1
	s_delay_alu instid0(VALU_DEP_1)
	v_or_b32_e32 v10, 0x7400, v10
; %bb.1036:                             ;   in Loop: Header=BB1_2 Depth=1
	s_or_b32 exec_lo, exec_lo, s34
.LBB1_1037:                             ;   in Loop: Header=BB1_2 Depth=1
	s_and_not1_saveexec_b32 s33, s33
; %bb.1038:                             ;   in Loop: Header=BB1_2 Depth=1
	s_delay_alu instid0(VALU_DEP_1)
	v_or_b32_e32 v10, 0x7800, v10
; %bb.1039:                             ;   in Loop: Header=BB1_2 Depth=1
	s_or_b32 exec_lo, exec_lo, s33
.LBB1_1040:                             ;   in Loop: Header=BB1_2 Depth=1
	s_and_not1_saveexec_b32 s31, s31
; %bb.1041:                             ;   in Loop: Header=BB1_2 Depth=1
	s_delay_alu instid0(VALU_DEP_1)
	v_or_b32_e32 v10, 0x7c00, v10
; %bb.1042:                             ;   in Loop: Header=BB1_2 Depth=1
	s_or_b32 exec_lo, exec_lo, s31
	v_mov_b32_e32 v0, s1
	s_mov_b32 s31, exec_lo
	ds_load_2addr_b64 v[12:15], v0 offset0:30 offset1:31
	ds_load_b64 v[16:17], v0 offset:256
	s_wait_dscnt 0x1
	v_mul_f64_e32 v[0:1], v[4:5], v[14:15]
	s_delay_alu instid0(VALU_DEP_1) | instskip(SKIP_1) | instid1(VALU_DEP_1)
	v_fmac_f64_e32 v[0:1], v[2:3], v[12:13]
	s_wait_dscnt 0x0
	v_fmac_f64_e32 v[0:1], v[6:7], v[16:17]
	s_delay_alu instid0(VALU_DEP_1)
	v_cmpx_ngt_f64_e32 s[28:29], v[0:1]
	s_xor_b32 s31, exec_lo, s31
	s_cbranch_execz .LBB1_1162
; %bb.1043:                             ;   in Loop: Header=BB1_2 Depth=1
	s_mov_b32 s33, exec_lo
	v_cmpx_ngt_f64_e32 s[70:71], v[0:1]
	s_xor_b32 s33, exec_lo, s33
	s_cbranch_execz .LBB1_1159
; %bb.1044:                             ;   in Loop: Header=BB1_2 Depth=1
	s_mov_b32 s34, exec_lo
	;; [unrolled: 5-line block ×30, first 2 shown]
	v_cmpx_gt_f64_e32 s[52:53], v[0:1]
; %bb.1073:                             ;   in Loop: Header=BB1_2 Depth=1
	v_add_nc_u32_e32 v10, 0x40000, v10
; %bb.1074:                             ;   in Loop: Header=BB1_2 Depth=1
	s_or_b32 exec_lo, exec_lo, s98
.LBB1_1075:                             ;   in Loop: Header=BB1_2 Depth=1
	s_and_not1_saveexec_b32 s97, s97
; %bb.1076:                             ;   in Loop: Header=BB1_2 Depth=1
	s_delay_alu instid0(VALU_DEP_1)
	v_add_nc_u32_e32 v10, 0x80000, v10
; %bb.1077:                             ;   in Loop: Header=BB1_2 Depth=1
	s_or_b32 exec_lo, exec_lo, s97
.LBB1_1078:                             ;   in Loop: Header=BB1_2 Depth=1
	s_and_not1_saveexec_b32 s96, s96
; %bb.1079:                             ;   in Loop: Header=BB1_2 Depth=1
	s_delay_alu instid0(VALU_DEP_1)
	v_add_nc_u32_e32 v10, 0xc0000, v10
; %bb.1080:                             ;   in Loop: Header=BB1_2 Depth=1
	s_or_b32 exec_lo, exec_lo, s96
.LBB1_1081:                             ;   in Loop: Header=BB1_2 Depth=1
	s_and_not1_saveexec_b32 s95, s95
; %bb.1082:                             ;   in Loop: Header=BB1_2 Depth=1
	s_delay_alu instid0(VALU_DEP_1)
	v_add_nc_u32_e32 v10, 0x100000, v10
; %bb.1083:                             ;   in Loop: Header=BB1_2 Depth=1
	s_or_b32 exec_lo, exec_lo, s95
.LBB1_1084:                             ;   in Loop: Header=BB1_2 Depth=1
	s_and_not1_saveexec_b32 s94, s94
; %bb.1085:                             ;   in Loop: Header=BB1_2 Depth=1
	s_delay_alu instid0(VALU_DEP_1)
	v_add_nc_u32_e32 v10, 0x140000, v10
; %bb.1086:                             ;   in Loop: Header=BB1_2 Depth=1
	s_or_b32 exec_lo, exec_lo, s94
.LBB1_1087:                             ;   in Loop: Header=BB1_2 Depth=1
	s_and_not1_saveexec_b32 s93, s93
; %bb.1088:                             ;   in Loop: Header=BB1_2 Depth=1
	s_delay_alu instid0(VALU_DEP_1)
	v_add_nc_u32_e32 v10, 0x180000, v10
; %bb.1089:                             ;   in Loop: Header=BB1_2 Depth=1
	s_or_b32 exec_lo, exec_lo, s93
.LBB1_1090:                             ;   in Loop: Header=BB1_2 Depth=1
	s_and_not1_saveexec_b32 s92, s92
; %bb.1091:                             ;   in Loop: Header=BB1_2 Depth=1
	s_delay_alu instid0(VALU_DEP_1)
	v_add_nc_u32_e32 v10, 0x1c0000, v10
; %bb.1092:                             ;   in Loop: Header=BB1_2 Depth=1
	s_or_b32 exec_lo, exec_lo, s92
.LBB1_1093:                             ;   in Loop: Header=BB1_2 Depth=1
	s_and_not1_saveexec_b32 s91, s91
; %bb.1094:                             ;   in Loop: Header=BB1_2 Depth=1
	s_delay_alu instid0(VALU_DEP_1)
	v_add_nc_u32_e32 v10, 0x200000, v10
; %bb.1095:                             ;   in Loop: Header=BB1_2 Depth=1
	s_or_b32 exec_lo, exec_lo, s91
.LBB1_1096:                             ;   in Loop: Header=BB1_2 Depth=1
	s_and_not1_saveexec_b32 s90, s90
; %bb.1097:                             ;   in Loop: Header=BB1_2 Depth=1
	s_delay_alu instid0(VALU_DEP_1)
	v_add_nc_u32_e32 v10, 0x240000, v10
; %bb.1098:                             ;   in Loop: Header=BB1_2 Depth=1
	s_or_b32 exec_lo, exec_lo, s90
.LBB1_1099:                             ;   in Loop: Header=BB1_2 Depth=1
	s_and_not1_saveexec_b32 s89, s89
; %bb.1100:                             ;   in Loop: Header=BB1_2 Depth=1
	s_delay_alu instid0(VALU_DEP_1)
	v_add_nc_u32_e32 v10, 0x280000, v10
; %bb.1101:                             ;   in Loop: Header=BB1_2 Depth=1
	s_or_b32 exec_lo, exec_lo, s89
.LBB1_1102:                             ;   in Loop: Header=BB1_2 Depth=1
	s_and_not1_saveexec_b32 s88, s88
; %bb.1103:                             ;   in Loop: Header=BB1_2 Depth=1
	s_delay_alu instid0(VALU_DEP_1)
	v_add_nc_u32_e32 v10, 0x2c0000, v10
; %bb.1104:                             ;   in Loop: Header=BB1_2 Depth=1
	s_or_b32 exec_lo, exec_lo, s88
.LBB1_1105:                             ;   in Loop: Header=BB1_2 Depth=1
	s_and_not1_saveexec_b32 s87, s87
; %bb.1106:                             ;   in Loop: Header=BB1_2 Depth=1
	s_delay_alu instid0(VALU_DEP_1)
	v_add_nc_u32_e32 v10, 0x300000, v10
; %bb.1107:                             ;   in Loop: Header=BB1_2 Depth=1
	s_or_b32 exec_lo, exec_lo, s87
.LBB1_1108:                             ;   in Loop: Header=BB1_2 Depth=1
	s_and_not1_saveexec_b32 s86, s86
; %bb.1109:                             ;   in Loop: Header=BB1_2 Depth=1
	s_delay_alu instid0(VALU_DEP_1)
	v_add_nc_u32_e32 v10, 0x340000, v10
; %bb.1110:                             ;   in Loop: Header=BB1_2 Depth=1
	s_or_b32 exec_lo, exec_lo, s86
.LBB1_1111:                             ;   in Loop: Header=BB1_2 Depth=1
	s_and_not1_saveexec_b32 s85, s85
; %bb.1112:                             ;   in Loop: Header=BB1_2 Depth=1
	s_delay_alu instid0(VALU_DEP_1)
	v_add_nc_u32_e32 v10, 0x380000, v10
; %bb.1113:                             ;   in Loop: Header=BB1_2 Depth=1
	s_or_b32 exec_lo, exec_lo, s85
.LBB1_1114:                             ;   in Loop: Header=BB1_2 Depth=1
	s_and_not1_saveexec_b32 s84, s84
; %bb.1115:                             ;   in Loop: Header=BB1_2 Depth=1
	s_delay_alu instid0(VALU_DEP_1)
	v_add_nc_u32_e32 v10, 0x3c0000, v10
; %bb.1116:                             ;   in Loop: Header=BB1_2 Depth=1
	s_or_b32 exec_lo, exec_lo, s84
.LBB1_1117:                             ;   in Loop: Header=BB1_2 Depth=1
	s_and_not1_saveexec_b32 s83, s83
; %bb.1118:                             ;   in Loop: Header=BB1_2 Depth=1
	s_delay_alu instid0(VALU_DEP_1)
	v_add_nc_u32_e32 v10, 0x400000, v10
; %bb.1119:                             ;   in Loop: Header=BB1_2 Depth=1
	s_or_b32 exec_lo, exec_lo, s83
.LBB1_1120:                             ;   in Loop: Header=BB1_2 Depth=1
	s_and_not1_saveexec_b32 s82, s82
; %bb.1121:                             ;   in Loop: Header=BB1_2 Depth=1
	s_delay_alu instid0(VALU_DEP_1)
	v_add_nc_u32_e32 v10, 0x440000, v10
; %bb.1122:                             ;   in Loop: Header=BB1_2 Depth=1
	s_or_b32 exec_lo, exec_lo, s82
.LBB1_1123:                             ;   in Loop: Header=BB1_2 Depth=1
	s_and_not1_saveexec_b32 s81, s81
; %bb.1124:                             ;   in Loop: Header=BB1_2 Depth=1
	s_delay_alu instid0(VALU_DEP_1)
	v_add_nc_u32_e32 v10, 0x480000, v10
; %bb.1125:                             ;   in Loop: Header=BB1_2 Depth=1
	s_or_b32 exec_lo, exec_lo, s81
.LBB1_1126:                             ;   in Loop: Header=BB1_2 Depth=1
	s_and_not1_saveexec_b32 s80, s80
; %bb.1127:                             ;   in Loop: Header=BB1_2 Depth=1
	s_delay_alu instid0(VALU_DEP_1)
	v_add_nc_u32_e32 v10, 0x4c0000, v10
; %bb.1128:                             ;   in Loop: Header=BB1_2 Depth=1
	s_or_b32 exec_lo, exec_lo, s80
.LBB1_1129:                             ;   in Loop: Header=BB1_2 Depth=1
	s_and_not1_saveexec_b32 s79, s79
; %bb.1130:                             ;   in Loop: Header=BB1_2 Depth=1
	s_delay_alu instid0(VALU_DEP_1)
	v_add_nc_u32_e32 v10, 0x500000, v10
; %bb.1131:                             ;   in Loop: Header=BB1_2 Depth=1
	s_or_b32 exec_lo, exec_lo, s79
.LBB1_1132:                             ;   in Loop: Header=BB1_2 Depth=1
	s_and_not1_saveexec_b32 s78, s78
; %bb.1133:                             ;   in Loop: Header=BB1_2 Depth=1
	s_delay_alu instid0(VALU_DEP_1)
	v_add_nc_u32_e32 v10, 0x540000, v10
; %bb.1134:                             ;   in Loop: Header=BB1_2 Depth=1
	s_or_b32 exec_lo, exec_lo, s78
.LBB1_1135:                             ;   in Loop: Header=BB1_2 Depth=1
	s_and_not1_saveexec_b32 s77, s77
; %bb.1136:                             ;   in Loop: Header=BB1_2 Depth=1
	s_delay_alu instid0(VALU_DEP_1)
	v_add_nc_u32_e32 v10, 0x580000, v10
; %bb.1137:                             ;   in Loop: Header=BB1_2 Depth=1
	s_or_b32 exec_lo, exec_lo, s77
.LBB1_1138:                             ;   in Loop: Header=BB1_2 Depth=1
	s_and_not1_saveexec_b32 s76, s76
; %bb.1139:                             ;   in Loop: Header=BB1_2 Depth=1
	s_delay_alu instid0(VALU_DEP_1)
	v_add_nc_u32_e32 v10, 0x5c0000, v10
; %bb.1140:                             ;   in Loop: Header=BB1_2 Depth=1
	s_or_b32 exec_lo, exec_lo, s76
.LBB1_1141:                             ;   in Loop: Header=BB1_2 Depth=1
	s_and_not1_saveexec_b32 s75, s75
; %bb.1142:                             ;   in Loop: Header=BB1_2 Depth=1
	s_delay_alu instid0(VALU_DEP_1)
	v_add_nc_u32_e32 v10, 0x600000, v10
; %bb.1143:                             ;   in Loop: Header=BB1_2 Depth=1
	s_or_b32 exec_lo, exec_lo, s75
.LBB1_1144:                             ;   in Loop: Header=BB1_2 Depth=1
	s_and_not1_saveexec_b32 s74, s74
; %bb.1145:                             ;   in Loop: Header=BB1_2 Depth=1
	s_delay_alu instid0(VALU_DEP_1)
	v_add_nc_u32_e32 v10, 0x640000, v10
; %bb.1146:                             ;   in Loop: Header=BB1_2 Depth=1
	s_or_b32 exec_lo, exec_lo, s74
.LBB1_1147:                             ;   in Loop: Header=BB1_2 Depth=1
	s_and_not1_saveexec_b32 s73, s73
; %bb.1148:                             ;   in Loop: Header=BB1_2 Depth=1
	s_delay_alu instid0(VALU_DEP_1)
	v_add_nc_u32_e32 v10, 0x680000, v10
; %bb.1149:                             ;   in Loop: Header=BB1_2 Depth=1
	s_or_b32 exec_lo, exec_lo, s73
.LBB1_1150:                             ;   in Loop: Header=BB1_2 Depth=1
	s_and_not1_saveexec_b32 s72, s72
; %bb.1151:                             ;   in Loop: Header=BB1_2 Depth=1
	s_delay_alu instid0(VALU_DEP_1)
	v_add_nc_u32_e32 v10, 0x6c0000, v10
; %bb.1152:                             ;   in Loop: Header=BB1_2 Depth=1
	s_or_b32 exec_lo, exec_lo, s72
.LBB1_1153:                             ;   in Loop: Header=BB1_2 Depth=1
	s_and_not1_saveexec_b32 s35, s35
; %bb.1154:                             ;   in Loop: Header=BB1_2 Depth=1
	s_delay_alu instid0(VALU_DEP_1)
	v_add_nc_u32_e32 v10, 0x700000, v10
; %bb.1155:                             ;   in Loop: Header=BB1_2 Depth=1
	s_or_b32 exec_lo, exec_lo, s35
.LBB1_1156:                             ;   in Loop: Header=BB1_2 Depth=1
	s_and_not1_saveexec_b32 s34, s34
; %bb.1157:                             ;   in Loop: Header=BB1_2 Depth=1
	s_delay_alu instid0(VALU_DEP_1)
	v_add_nc_u32_e32 v10, 0x740000, v10
; %bb.1158:                             ;   in Loop: Header=BB1_2 Depth=1
	s_or_b32 exec_lo, exec_lo, s34
.LBB1_1159:                             ;   in Loop: Header=BB1_2 Depth=1
	s_and_not1_saveexec_b32 s33, s33
; %bb.1160:                             ;   in Loop: Header=BB1_2 Depth=1
	s_delay_alu instid0(VALU_DEP_1)
	v_add_nc_u32_e32 v10, 0x780000, v10
; %bb.1161:                             ;   in Loop: Header=BB1_2 Depth=1
	s_or_b32 exec_lo, exec_lo, s33
.LBB1_1162:                             ;   in Loop: Header=BB1_2 Depth=1
	s_and_not1_saveexec_b32 s31, s31
; %bb.1163:                             ;   in Loop: Header=BB1_2 Depth=1
	s_delay_alu instid0(VALU_DEP_1)
	v_add_nc_u32_e32 v10, 0x7c0000, v10
; %bb.1164:                             ;   in Loop: Header=BB1_2 Depth=1
	s_or_b32 exec_lo, exec_lo, s31
	v_mov_b32_e32 v0, s1
	s_mov_b32 s31, exec_lo
	ds_load_2addr_b64 v[12:15], v0 offset0:33 offset1:34
	ds_load_b64 v[16:17], v0 offset:280
	s_wait_dscnt 0x1
	v_mul_f64_e32 v[0:1], v[4:5], v[14:15]
	s_delay_alu instid0(VALU_DEP_1) | instskip(SKIP_1) | instid1(VALU_DEP_1)
	v_fmac_f64_e32 v[0:1], v[2:3], v[12:13]
	s_wait_dscnt 0x0
	v_fmac_f64_e32 v[0:1], v[6:7], v[16:17]
	s_delay_alu instid0(VALU_DEP_1)
	v_cmpx_ngt_f64_e32 s[28:29], v[0:1]
	s_xor_b32 s31, exec_lo, s31
	s_cbranch_execz .LBB1_1284
; %bb.1165:                             ;   in Loop: Header=BB1_2 Depth=1
	s_mov_b32 s33, exec_lo
	v_cmpx_ngt_f64_e32 s[70:71], v[0:1]
	s_xor_b32 s33, exec_lo, s33
	s_cbranch_execz .LBB1_1281
; %bb.1166:                             ;   in Loop: Header=BB1_2 Depth=1
	s_mov_b32 s34, exec_lo
	v_cmpx_ngt_f64_e32 s[68:69], v[0:1]
	s_xor_b32 s34, exec_lo, s34
	s_cbranch_execz .LBB1_1278
; %bb.1167:                             ;   in Loop: Header=BB1_2 Depth=1
	s_mov_b32 s35, exec_lo
	v_cmpx_ngt_f64_e32 s[26:27], v[0:1]
	s_xor_b32 s35, exec_lo, s35
	s_cbranch_execz .LBB1_1275
; %bb.1168:                             ;   in Loop: Header=BB1_2 Depth=1
	s_mov_b32 s72, exec_lo
	v_cmpx_ngt_f64_e32 s[24:25], v[0:1]
	s_xor_b32 s72, exec_lo, s72
	s_cbranch_execz .LBB1_1272
; %bb.1169:                             ;   in Loop: Header=BB1_2 Depth=1
	s_mov_b32 s73, exec_lo
	v_cmpx_ngt_f64_e32 s[22:23], v[0:1]
	s_xor_b32 s73, exec_lo, s73
	s_cbranch_execz .LBB1_1269
; %bb.1170:                             ;   in Loop: Header=BB1_2 Depth=1
	s_mov_b32 s74, exec_lo
	v_cmpx_ngt_f64_e32 s[20:21], v[0:1]
	s_xor_b32 s74, exec_lo, s74
	s_cbranch_execz .LBB1_1266
; %bb.1171:                             ;   in Loop: Header=BB1_2 Depth=1
	s_mov_b32 s75, exec_lo
	v_cmpx_ngt_f64_e32 s[18:19], v[0:1]
	s_xor_b32 s75, exec_lo, s75
	s_cbranch_execz .LBB1_1263
; %bb.1172:                             ;   in Loop: Header=BB1_2 Depth=1
	s_mov_b32 s76, exec_lo
	v_cmpx_ngt_f64_e32 s[16:17], v[0:1]
	s_xor_b32 s76, exec_lo, s76
	s_cbranch_execz .LBB1_1260
; %bb.1173:                             ;   in Loop: Header=BB1_2 Depth=1
	s_mov_b32 s77, exec_lo
	v_cmpx_ngt_f64_e32 s[14:15], v[0:1]
	s_xor_b32 s77, exec_lo, s77
	s_cbranch_execz .LBB1_1257
; %bb.1174:                             ;   in Loop: Header=BB1_2 Depth=1
	s_mov_b32 s78, exec_lo
	v_cmpx_ngt_f64_e32 s[12:13], v[0:1]
	s_xor_b32 s78, exec_lo, s78
	s_cbranch_execz .LBB1_1254
; %bb.1175:                             ;   in Loop: Header=BB1_2 Depth=1
	s_mov_b32 s79, exec_lo
	v_cmpx_ngt_f64_e32 s[10:11], v[0:1]
	s_xor_b32 s79, exec_lo, s79
	s_cbranch_execz .LBB1_1251
; %bb.1176:                             ;   in Loop: Header=BB1_2 Depth=1
	s_mov_b32 s80, exec_lo
	v_cmpx_ngt_f64_e32 s[8:9], v[0:1]
	s_xor_b32 s80, exec_lo, s80
	s_cbranch_execz .LBB1_1248
; %bb.1177:                             ;   in Loop: Header=BB1_2 Depth=1
	s_mov_b32 s81, exec_lo
	v_cmpx_ngt_f64_e32 s[6:7], v[0:1]
	s_xor_b32 s81, exec_lo, s81
	s_cbranch_execz .LBB1_1245
; %bb.1178:                             ;   in Loop: Header=BB1_2 Depth=1
	s_mov_b32 s82, exec_lo
	v_cmpx_ngt_f64_e32 s[4:5], v[0:1]
	s_xor_b32 s82, exec_lo, s82
	s_cbranch_execz .LBB1_1242
; %bb.1179:                             ;   in Loop: Header=BB1_2 Depth=1
	s_mov_b32 s83, exec_lo
	v_cmpx_ngt_f64_e32 s[50:51], v[0:1]
	s_xor_b32 s83, exec_lo, s83
	s_cbranch_execz .LBB1_1239
; %bb.1180:                             ;   in Loop: Header=BB1_2 Depth=1
	s_mov_b32 s84, exec_lo
	v_cmpx_ngt_f64_e32 s[48:49], v[0:1]
	s_xor_b32 s84, exec_lo, s84
	s_cbranch_execz .LBB1_1236
; %bb.1181:                             ;   in Loop: Header=BB1_2 Depth=1
	s_mov_b32 s85, exec_lo
	v_cmpx_ngt_f64_e32 s[46:47], v[0:1]
	s_xor_b32 s85, exec_lo, s85
	s_cbranch_execz .LBB1_1233
; %bb.1182:                             ;   in Loop: Header=BB1_2 Depth=1
	s_mov_b32 s86, exec_lo
	v_cmpx_ngt_f64_e32 s[44:45], v[0:1]
	s_xor_b32 s86, exec_lo, s86
	s_cbranch_execz .LBB1_1230
; %bb.1183:                             ;   in Loop: Header=BB1_2 Depth=1
	s_mov_b32 s87, exec_lo
	v_cmpx_ngt_f64_e32 s[42:43], v[0:1]
	s_xor_b32 s87, exec_lo, s87
	s_cbranch_execz .LBB1_1227
; %bb.1184:                             ;   in Loop: Header=BB1_2 Depth=1
	s_mov_b32 s88, exec_lo
	v_cmpx_ngt_f64_e32 s[40:41], v[0:1]
	s_xor_b32 s88, exec_lo, s88
	s_cbranch_execz .LBB1_1224
; %bb.1185:                             ;   in Loop: Header=BB1_2 Depth=1
	s_mov_b32 s89, exec_lo
	v_cmpx_ngt_f64_e32 s[38:39], v[0:1]
	s_xor_b32 s89, exec_lo, s89
	s_cbranch_execz .LBB1_1221
; %bb.1186:                             ;   in Loop: Header=BB1_2 Depth=1
	s_mov_b32 s90, exec_lo
	v_cmpx_ngt_f64_e32 s[36:37], v[0:1]
	s_xor_b32 s90, exec_lo, s90
	s_cbranch_execz .LBB1_1218
; %bb.1187:                             ;   in Loop: Header=BB1_2 Depth=1
	s_mov_b32 s91, exec_lo
	v_cmpx_ngt_f64_e32 s[66:67], v[0:1]
	s_xor_b32 s91, exec_lo, s91
	s_cbranch_execz .LBB1_1215
; %bb.1188:                             ;   in Loop: Header=BB1_2 Depth=1
	s_mov_b32 s92, exec_lo
	v_cmpx_ngt_f64_e32 s[64:65], v[0:1]
	s_xor_b32 s92, exec_lo, s92
	s_cbranch_execz .LBB1_1212
; %bb.1189:                             ;   in Loop: Header=BB1_2 Depth=1
	s_mov_b32 s93, exec_lo
	v_cmpx_ngt_f64_e32 s[62:63], v[0:1]
	s_xor_b32 s93, exec_lo, s93
	s_cbranch_execz .LBB1_1209
; %bb.1190:                             ;   in Loop: Header=BB1_2 Depth=1
	s_mov_b32 s94, exec_lo
	v_cmpx_ngt_f64_e32 s[60:61], v[0:1]
	s_xor_b32 s94, exec_lo, s94
	s_cbranch_execz .LBB1_1206
; %bb.1191:                             ;   in Loop: Header=BB1_2 Depth=1
	s_mov_b32 s95, exec_lo
	v_cmpx_ngt_f64_e32 s[58:59], v[0:1]
	s_xor_b32 s95, exec_lo, s95
	s_cbranch_execz .LBB1_1203
; %bb.1192:                             ;   in Loop: Header=BB1_2 Depth=1
	s_mov_b32 s96, exec_lo
	v_cmpx_ngt_f64_e32 s[56:57], v[0:1]
	s_xor_b32 s96, exec_lo, s96
	s_cbranch_execz .LBB1_1200
; %bb.1193:                             ;   in Loop: Header=BB1_2 Depth=1
	s_mov_b32 s97, exec_lo
	v_cmpx_ngt_f64_e32 s[54:55], v[0:1]
	s_xor_b32 s97, exec_lo, s97
	s_cbranch_execz .LBB1_1197
; %bb.1194:                             ;   in Loop: Header=BB1_2 Depth=1
	s_mov_b32 s98, exec_lo
	v_cmpx_gt_f64_e32 s[52:53], v[0:1]
; %bb.1195:                             ;   in Loop: Header=BB1_2 Depth=1
	v_add_nc_u32_e32 v10, 0x4000000, v10
; %bb.1196:                             ;   in Loop: Header=BB1_2 Depth=1
	s_or_b32 exec_lo, exec_lo, s98
.LBB1_1197:                             ;   in Loop: Header=BB1_2 Depth=1
	s_and_not1_saveexec_b32 s97, s97
; %bb.1198:                             ;   in Loop: Header=BB1_2 Depth=1
	s_delay_alu instid0(VALU_DEP_1)
	v_add_nc_u32_e32 v10, 0x8000000, v10
; %bb.1199:                             ;   in Loop: Header=BB1_2 Depth=1
	s_or_b32 exec_lo, exec_lo, s97
.LBB1_1200:                             ;   in Loop: Header=BB1_2 Depth=1
	s_and_not1_saveexec_b32 s96, s96
; %bb.1201:                             ;   in Loop: Header=BB1_2 Depth=1
	s_delay_alu instid0(VALU_DEP_1)
	v_add_nc_u32_e32 v10, 0xc000000, v10
; %bb.1202:                             ;   in Loop: Header=BB1_2 Depth=1
	s_or_b32 exec_lo, exec_lo, s96
.LBB1_1203:                             ;   in Loop: Header=BB1_2 Depth=1
	s_and_not1_saveexec_b32 s95, s95
; %bb.1204:                             ;   in Loop: Header=BB1_2 Depth=1
	s_delay_alu instid0(VALU_DEP_1)
	v_add_nc_u32_e32 v10, 0x10000000, v10
; %bb.1205:                             ;   in Loop: Header=BB1_2 Depth=1
	s_or_b32 exec_lo, exec_lo, s95
.LBB1_1206:                             ;   in Loop: Header=BB1_2 Depth=1
	s_and_not1_saveexec_b32 s94, s94
; %bb.1207:                             ;   in Loop: Header=BB1_2 Depth=1
	s_delay_alu instid0(VALU_DEP_1)
	v_add_nc_u32_e32 v10, 0x14000000, v10
; %bb.1208:                             ;   in Loop: Header=BB1_2 Depth=1
	s_or_b32 exec_lo, exec_lo, s94
.LBB1_1209:                             ;   in Loop: Header=BB1_2 Depth=1
	s_and_not1_saveexec_b32 s93, s93
; %bb.1210:                             ;   in Loop: Header=BB1_2 Depth=1
	s_delay_alu instid0(VALU_DEP_1)
	v_add_nc_u32_e32 v10, 0x18000000, v10
; %bb.1211:                             ;   in Loop: Header=BB1_2 Depth=1
	s_or_b32 exec_lo, exec_lo, s93
.LBB1_1212:                             ;   in Loop: Header=BB1_2 Depth=1
	s_and_not1_saveexec_b32 s92, s92
; %bb.1213:                             ;   in Loop: Header=BB1_2 Depth=1
	s_delay_alu instid0(VALU_DEP_1)
	v_add_nc_u32_e32 v10, 0x1c000000, v10
; %bb.1214:                             ;   in Loop: Header=BB1_2 Depth=1
	s_or_b32 exec_lo, exec_lo, s92
.LBB1_1215:                             ;   in Loop: Header=BB1_2 Depth=1
	s_and_not1_saveexec_b32 s91, s91
; %bb.1216:                             ;   in Loop: Header=BB1_2 Depth=1
	s_delay_alu instid0(VALU_DEP_1)
	v_add_nc_u32_e32 v10, 0x20000000, v10
; %bb.1217:                             ;   in Loop: Header=BB1_2 Depth=1
	s_or_b32 exec_lo, exec_lo, s91
.LBB1_1218:                             ;   in Loop: Header=BB1_2 Depth=1
	s_and_not1_saveexec_b32 s90, s90
; %bb.1219:                             ;   in Loop: Header=BB1_2 Depth=1
	s_delay_alu instid0(VALU_DEP_1)
	v_add_nc_u32_e32 v10, 0x24000000, v10
; %bb.1220:                             ;   in Loop: Header=BB1_2 Depth=1
	s_or_b32 exec_lo, exec_lo, s90
.LBB1_1221:                             ;   in Loop: Header=BB1_2 Depth=1
	s_and_not1_saveexec_b32 s89, s89
; %bb.1222:                             ;   in Loop: Header=BB1_2 Depth=1
	s_delay_alu instid0(VALU_DEP_1)
	v_add_nc_u32_e32 v10, 0x28000000, v10
; %bb.1223:                             ;   in Loop: Header=BB1_2 Depth=1
	s_or_b32 exec_lo, exec_lo, s89
.LBB1_1224:                             ;   in Loop: Header=BB1_2 Depth=1
	s_and_not1_saveexec_b32 s88, s88
; %bb.1225:                             ;   in Loop: Header=BB1_2 Depth=1
	s_delay_alu instid0(VALU_DEP_1)
	v_add_nc_u32_e32 v10, 0x2c000000, v10
; %bb.1226:                             ;   in Loop: Header=BB1_2 Depth=1
	s_or_b32 exec_lo, exec_lo, s88
.LBB1_1227:                             ;   in Loop: Header=BB1_2 Depth=1
	s_and_not1_saveexec_b32 s87, s87
; %bb.1228:                             ;   in Loop: Header=BB1_2 Depth=1
	s_delay_alu instid0(VALU_DEP_1)
	v_add_nc_u32_e32 v10, 0x30000000, v10
; %bb.1229:                             ;   in Loop: Header=BB1_2 Depth=1
	s_or_b32 exec_lo, exec_lo, s87
.LBB1_1230:                             ;   in Loop: Header=BB1_2 Depth=1
	s_and_not1_saveexec_b32 s86, s86
; %bb.1231:                             ;   in Loop: Header=BB1_2 Depth=1
	s_delay_alu instid0(VALU_DEP_1)
	v_add_nc_u32_e32 v10, 0x34000000, v10
; %bb.1232:                             ;   in Loop: Header=BB1_2 Depth=1
	s_or_b32 exec_lo, exec_lo, s86
.LBB1_1233:                             ;   in Loop: Header=BB1_2 Depth=1
	s_and_not1_saveexec_b32 s85, s85
; %bb.1234:                             ;   in Loop: Header=BB1_2 Depth=1
	s_delay_alu instid0(VALU_DEP_1)
	v_add_nc_u32_e32 v10, 0x38000000, v10
; %bb.1235:                             ;   in Loop: Header=BB1_2 Depth=1
	s_or_b32 exec_lo, exec_lo, s85
.LBB1_1236:                             ;   in Loop: Header=BB1_2 Depth=1
	s_and_not1_saveexec_b32 s84, s84
; %bb.1237:                             ;   in Loop: Header=BB1_2 Depth=1
	s_delay_alu instid0(VALU_DEP_1)
	v_add_nc_u32_e32 v10, 0x3c000000, v10
; %bb.1238:                             ;   in Loop: Header=BB1_2 Depth=1
	s_or_b32 exec_lo, exec_lo, s84
.LBB1_1239:                             ;   in Loop: Header=BB1_2 Depth=1
	s_and_not1_saveexec_b32 s83, s83
; %bb.1240:                             ;   in Loop: Header=BB1_2 Depth=1
	s_delay_alu instid0(VALU_DEP_1)
	v_add_nc_u32_e32 v10, 2.0, v10
; %bb.1241:                             ;   in Loop: Header=BB1_2 Depth=1
	s_or_b32 exec_lo, exec_lo, s83
.LBB1_1242:                             ;   in Loop: Header=BB1_2 Depth=1
	s_and_not1_saveexec_b32 s82, s82
; %bb.1243:                             ;   in Loop: Header=BB1_2 Depth=1
	s_delay_alu instid0(VALU_DEP_1)
	v_add_nc_u32_e32 v10, 0x44000000, v10
; %bb.1244:                             ;   in Loop: Header=BB1_2 Depth=1
	s_or_b32 exec_lo, exec_lo, s82
.LBB1_1245:                             ;   in Loop: Header=BB1_2 Depth=1
	s_and_not1_saveexec_b32 s81, s81
; %bb.1246:                             ;   in Loop: Header=BB1_2 Depth=1
	s_delay_alu instid0(VALU_DEP_1)
	v_add_nc_u32_e32 v10, 0x48000000, v10
; %bb.1247:                             ;   in Loop: Header=BB1_2 Depth=1
	s_or_b32 exec_lo, exec_lo, s81
.LBB1_1248:                             ;   in Loop: Header=BB1_2 Depth=1
	s_and_not1_saveexec_b32 s80, s80
; %bb.1249:                             ;   in Loop: Header=BB1_2 Depth=1
	s_delay_alu instid0(VALU_DEP_1)
	v_add_nc_u32_e32 v10, 0x4c000000, v10
; %bb.1250:                             ;   in Loop: Header=BB1_2 Depth=1
	s_or_b32 exec_lo, exec_lo, s80
.LBB1_1251:                             ;   in Loop: Header=BB1_2 Depth=1
	s_and_not1_saveexec_b32 s79, s79
; %bb.1252:                             ;   in Loop: Header=BB1_2 Depth=1
	s_delay_alu instid0(VALU_DEP_1)
	v_add_nc_u32_e32 v10, 0x50000000, v10
; %bb.1253:                             ;   in Loop: Header=BB1_2 Depth=1
	s_or_b32 exec_lo, exec_lo, s79
.LBB1_1254:                             ;   in Loop: Header=BB1_2 Depth=1
	s_and_not1_saveexec_b32 s78, s78
; %bb.1255:                             ;   in Loop: Header=BB1_2 Depth=1
	s_delay_alu instid0(VALU_DEP_1)
	v_add_nc_u32_e32 v10, 0x54000000, v10
; %bb.1256:                             ;   in Loop: Header=BB1_2 Depth=1
	s_or_b32 exec_lo, exec_lo, s78
.LBB1_1257:                             ;   in Loop: Header=BB1_2 Depth=1
	s_and_not1_saveexec_b32 s77, s77
; %bb.1258:                             ;   in Loop: Header=BB1_2 Depth=1
	s_delay_alu instid0(VALU_DEP_1)
	v_add_nc_u32_e32 v10, 0x58000000, v10
; %bb.1259:                             ;   in Loop: Header=BB1_2 Depth=1
	s_or_b32 exec_lo, exec_lo, s77
.LBB1_1260:                             ;   in Loop: Header=BB1_2 Depth=1
	s_and_not1_saveexec_b32 s76, s76
; %bb.1261:                             ;   in Loop: Header=BB1_2 Depth=1
	s_delay_alu instid0(VALU_DEP_1)
	v_add_nc_u32_e32 v10, 0x5c000000, v10
; %bb.1262:                             ;   in Loop: Header=BB1_2 Depth=1
	s_or_b32 exec_lo, exec_lo, s76
.LBB1_1263:                             ;   in Loop: Header=BB1_2 Depth=1
	s_and_not1_saveexec_b32 s75, s75
; %bb.1264:                             ;   in Loop: Header=BB1_2 Depth=1
	s_delay_alu instid0(VALU_DEP_1)
	v_add_nc_u32_e32 v10, 0x60000000, v10
; %bb.1265:                             ;   in Loop: Header=BB1_2 Depth=1
	s_or_b32 exec_lo, exec_lo, s75
.LBB1_1266:                             ;   in Loop: Header=BB1_2 Depth=1
	s_and_not1_saveexec_b32 s74, s74
; %bb.1267:                             ;   in Loop: Header=BB1_2 Depth=1
	s_delay_alu instid0(VALU_DEP_1)
	v_add_nc_u32_e32 v10, 0x64000000, v10
; %bb.1268:                             ;   in Loop: Header=BB1_2 Depth=1
	s_or_b32 exec_lo, exec_lo, s74
.LBB1_1269:                             ;   in Loop: Header=BB1_2 Depth=1
	s_and_not1_saveexec_b32 s73, s73
; %bb.1270:                             ;   in Loop: Header=BB1_2 Depth=1
	s_delay_alu instid0(VALU_DEP_1)
	v_add_nc_u32_e32 v10, 0x68000000, v10
; %bb.1271:                             ;   in Loop: Header=BB1_2 Depth=1
	s_or_b32 exec_lo, exec_lo, s73
.LBB1_1272:                             ;   in Loop: Header=BB1_2 Depth=1
	s_and_not1_saveexec_b32 s72, s72
; %bb.1273:                             ;   in Loop: Header=BB1_2 Depth=1
	s_delay_alu instid0(VALU_DEP_1)
	v_add_nc_u32_e32 v10, 0x6c000000, v10
; %bb.1274:                             ;   in Loop: Header=BB1_2 Depth=1
	s_or_b32 exec_lo, exec_lo, s72
.LBB1_1275:                             ;   in Loop: Header=BB1_2 Depth=1
	s_and_not1_saveexec_b32 s35, s35
; %bb.1276:                             ;   in Loop: Header=BB1_2 Depth=1
	s_delay_alu instid0(VALU_DEP_1)
	v_add_nc_u32_e32 v10, 0x70000000, v10
; %bb.1277:                             ;   in Loop: Header=BB1_2 Depth=1
	s_or_b32 exec_lo, exec_lo, s35
.LBB1_1278:                             ;   in Loop: Header=BB1_2 Depth=1
	s_and_not1_saveexec_b32 s34, s34
; %bb.1279:                             ;   in Loop: Header=BB1_2 Depth=1
	s_delay_alu instid0(VALU_DEP_1)
	v_add_nc_u32_e32 v10, 0x74000000, v10
; %bb.1280:                             ;   in Loop: Header=BB1_2 Depth=1
	s_or_b32 exec_lo, exec_lo, s34
.LBB1_1281:                             ;   in Loop: Header=BB1_2 Depth=1
	s_and_not1_saveexec_b32 s33, s33
; %bb.1282:                             ;   in Loop: Header=BB1_2 Depth=1
	s_delay_alu instid0(VALU_DEP_1)
	v_add_nc_u32_e32 v10, 0x78000000, v10
; %bb.1283:                             ;   in Loop: Header=BB1_2 Depth=1
	s_or_b32 exec_lo, exec_lo, s33
.LBB1_1284:                             ;   in Loop: Header=BB1_2 Depth=1
	s_and_not1_saveexec_b32 s31, s31
; %bb.1285:                             ;   in Loop: Header=BB1_2 Depth=1
	s_delay_alu instid0(VALU_DEP_1)
	v_add_nc_u32_e32 v10, 0x7c000000, v10
; %bb.1286:                             ;   in Loop: Header=BB1_2 Depth=1
	s_or_b32 exec_lo, exec_lo, s31
	v_dual_mov_b32 v0, s1 :: v_dual_mov_b32 v9, 0x7c
	v_add3_u32 v11, v8, s30, 0x8000
	s_mov_b32 s31, exec_lo
	ds_load_2addr_b64 v[12:15], v0 offset0:36 offset1:37
	ds_load_b64 v[16:17], v0 offset:304
	global_store_b32 v11, v10, s[2:3] scale_offset
	s_wait_dscnt 0x1
	v_mul_f64_e32 v[0:1], v[4:5], v[14:15]
	s_delay_alu instid0(VALU_DEP_1) | instskip(SKIP_1) | instid1(VALU_DEP_1)
	v_fmac_f64_e32 v[0:1], v[2:3], v[12:13]
	s_wait_dscnt 0x0
	v_fmac_f64_e32 v[0:1], v[6:7], v[16:17]
	s_wait_xcnt 0x0
	s_delay_alu instid0(VALU_DEP_1)
	v_cmpx_ngt_f64_e32 s[28:29], v[0:1]
	s_cbranch_execz .LBB1_1348
; %bb.1287:                             ;   in Loop: Header=BB1_2 Depth=1
	v_mov_b32_e32 v9, 0x78
	s_mov_b32 s33, exec_lo
	v_cmpx_ngt_f64_e32 s[70:71], v[0:1]
	s_cbranch_execz .LBB1_1347
; %bb.1288:                             ;   in Loop: Header=BB1_2 Depth=1
	v_mov_b32_e32 v9, 0x74
	s_mov_b32 s34, exec_lo
	;; [unrolled: 5-line block ×30, first 2 shown]
	v_cmpx_gt_f64_e32 s[52:53], v[0:1]
; %bb.1317:                             ;   in Loop: Header=BB1_2 Depth=1
	v_mov_b32_e32 v9, 4
; %bb.1318:                             ;   in Loop: Header=BB1_2 Depth=1
	s_or_b32 exec_lo, exec_lo, s98
.LBB1_1319:                             ;   in Loop: Header=BB1_2 Depth=1
	s_delay_alu instid0(SALU_CYCLE_1)
	s_or_b32 exec_lo, exec_lo, s97
.LBB1_1320:                             ;   in Loop: Header=BB1_2 Depth=1
	s_delay_alu instid0(SALU_CYCLE_1)
	s_or_b32 exec_lo, exec_lo, s96
.LBB1_1321:                             ;   in Loop: Header=BB1_2 Depth=1
	s_delay_alu instid0(SALU_CYCLE_1)
	s_or_b32 exec_lo, exec_lo, s95
.LBB1_1322:                             ;   in Loop: Header=BB1_2 Depth=1
	s_delay_alu instid0(SALU_CYCLE_1)
	s_or_b32 exec_lo, exec_lo, s94
.LBB1_1323:                             ;   in Loop: Header=BB1_2 Depth=1
	s_delay_alu instid0(SALU_CYCLE_1)
	s_or_b32 exec_lo, exec_lo, s93
.LBB1_1324:                             ;   in Loop: Header=BB1_2 Depth=1
	s_delay_alu instid0(SALU_CYCLE_1)
	s_or_b32 exec_lo, exec_lo, s92
.LBB1_1325:                             ;   in Loop: Header=BB1_2 Depth=1
	s_delay_alu instid0(SALU_CYCLE_1)
	s_or_b32 exec_lo, exec_lo, s91
.LBB1_1326:                             ;   in Loop: Header=BB1_2 Depth=1
	s_delay_alu instid0(SALU_CYCLE_1)
	s_or_b32 exec_lo, exec_lo, s90
.LBB1_1327:                             ;   in Loop: Header=BB1_2 Depth=1
	s_delay_alu instid0(SALU_CYCLE_1)
	s_or_b32 exec_lo, exec_lo, s89
.LBB1_1328:                             ;   in Loop: Header=BB1_2 Depth=1
	s_delay_alu instid0(SALU_CYCLE_1)
	s_or_b32 exec_lo, exec_lo, s88
.LBB1_1329:                             ;   in Loop: Header=BB1_2 Depth=1
	s_delay_alu instid0(SALU_CYCLE_1)
	s_or_b32 exec_lo, exec_lo, s87
.LBB1_1330:                             ;   in Loop: Header=BB1_2 Depth=1
	s_delay_alu instid0(SALU_CYCLE_1)
	s_or_b32 exec_lo, exec_lo, s86
.LBB1_1331:                             ;   in Loop: Header=BB1_2 Depth=1
	s_delay_alu instid0(SALU_CYCLE_1)
	s_or_b32 exec_lo, exec_lo, s85
.LBB1_1332:                             ;   in Loop: Header=BB1_2 Depth=1
	s_delay_alu instid0(SALU_CYCLE_1)
	s_or_b32 exec_lo, exec_lo, s84
.LBB1_1333:                             ;   in Loop: Header=BB1_2 Depth=1
	s_delay_alu instid0(SALU_CYCLE_1)
	s_or_b32 exec_lo, exec_lo, s83
.LBB1_1334:                             ;   in Loop: Header=BB1_2 Depth=1
	s_delay_alu instid0(SALU_CYCLE_1)
	s_or_b32 exec_lo, exec_lo, s82
.LBB1_1335:                             ;   in Loop: Header=BB1_2 Depth=1
	s_delay_alu instid0(SALU_CYCLE_1)
	s_or_b32 exec_lo, exec_lo, s81
.LBB1_1336:                             ;   in Loop: Header=BB1_2 Depth=1
	s_delay_alu instid0(SALU_CYCLE_1)
	s_or_b32 exec_lo, exec_lo, s80
.LBB1_1337:                             ;   in Loop: Header=BB1_2 Depth=1
	s_delay_alu instid0(SALU_CYCLE_1)
	s_or_b32 exec_lo, exec_lo, s79
.LBB1_1338:                             ;   in Loop: Header=BB1_2 Depth=1
	s_delay_alu instid0(SALU_CYCLE_1)
	s_or_b32 exec_lo, exec_lo, s78
.LBB1_1339:                             ;   in Loop: Header=BB1_2 Depth=1
	s_delay_alu instid0(SALU_CYCLE_1)
	s_or_b32 exec_lo, exec_lo, s77
.LBB1_1340:                             ;   in Loop: Header=BB1_2 Depth=1
	s_delay_alu instid0(SALU_CYCLE_1)
	s_or_b32 exec_lo, exec_lo, s76
.LBB1_1341:                             ;   in Loop: Header=BB1_2 Depth=1
	s_delay_alu instid0(SALU_CYCLE_1)
	s_or_b32 exec_lo, exec_lo, s75
.LBB1_1342:                             ;   in Loop: Header=BB1_2 Depth=1
	s_delay_alu instid0(SALU_CYCLE_1)
	s_or_b32 exec_lo, exec_lo, s74
.LBB1_1343:                             ;   in Loop: Header=BB1_2 Depth=1
	s_delay_alu instid0(SALU_CYCLE_1)
	s_or_b32 exec_lo, exec_lo, s73
.LBB1_1344:                             ;   in Loop: Header=BB1_2 Depth=1
	s_delay_alu instid0(SALU_CYCLE_1)
	s_or_b32 exec_lo, exec_lo, s72
.LBB1_1345:                             ;   in Loop: Header=BB1_2 Depth=1
	s_delay_alu instid0(SALU_CYCLE_1)
	s_or_b32 exec_lo, exec_lo, s35
.LBB1_1346:                             ;   in Loop: Header=BB1_2 Depth=1
	s_delay_alu instid0(SALU_CYCLE_1)
	s_or_b32 exec_lo, exec_lo, s34
.LBB1_1347:                             ;   in Loop: Header=BB1_2 Depth=1
	s_delay_alu instid0(SALU_CYCLE_1)
	s_or_b32 exec_lo, exec_lo, s33
.LBB1_1348:                             ;   in Loop: Header=BB1_2 Depth=1
	s_delay_alu instid0(SALU_CYCLE_1)
	s_or_b32 exec_lo, exec_lo, s31
	v_mov_b32_e32 v0, s1
	s_mov_b32 s31, exec_lo
	ds_load_2addr_b64 v[10:13], v0 offset0:39 offset1:40
	ds_load_b64 v[14:15], v0 offset:328
	s_wait_dscnt 0x1
	v_mul_f64_e32 v[0:1], v[4:5], v[12:13]
	s_delay_alu instid0(VALU_DEP_1) | instskip(SKIP_1) | instid1(VALU_DEP_1)
	v_fmac_f64_e32 v[0:1], v[2:3], v[10:11]
	s_wait_dscnt 0x0
	v_fmac_f64_e32 v[0:1], v[6:7], v[14:15]
	s_delay_alu instid0(VALU_DEP_1)
	v_cmpx_ngt_f64_e32 s[28:29], v[0:1]
	s_xor_b32 s31, exec_lo, s31
	s_cbranch_execz .LBB1_1468
; %bb.1349:                             ;   in Loop: Header=BB1_2 Depth=1
	s_mov_b32 s33, exec_lo
	v_cmpx_ngt_f64_e32 s[70:71], v[0:1]
	s_xor_b32 s33, exec_lo, s33
	s_cbranch_execz .LBB1_1465
; %bb.1350:                             ;   in Loop: Header=BB1_2 Depth=1
	s_mov_b32 s34, exec_lo
	;; [unrolled: 5-line block ×30, first 2 shown]
	v_cmpx_gt_f64_e32 s[52:53], v[0:1]
; %bb.1379:                             ;   in Loop: Header=BB1_2 Depth=1
	v_or_b32_e32 v9, 0x400, v9
; %bb.1380:                             ;   in Loop: Header=BB1_2 Depth=1
	s_or_b32 exec_lo, exec_lo, s98
.LBB1_1381:                             ;   in Loop: Header=BB1_2 Depth=1
	s_and_not1_saveexec_b32 s97, s97
; %bb.1382:                             ;   in Loop: Header=BB1_2 Depth=1
	s_delay_alu instid0(VALU_DEP_1)
	v_or_b32_e32 v9, 0x800, v9
; %bb.1383:                             ;   in Loop: Header=BB1_2 Depth=1
	s_or_b32 exec_lo, exec_lo, s97
.LBB1_1384:                             ;   in Loop: Header=BB1_2 Depth=1
	s_and_not1_saveexec_b32 s96, s96
; %bb.1385:                             ;   in Loop: Header=BB1_2 Depth=1
	s_delay_alu instid0(VALU_DEP_1)
	v_or_b32_e32 v9, 0xc00, v9
; %bb.1386:                             ;   in Loop: Header=BB1_2 Depth=1
	s_or_b32 exec_lo, exec_lo, s96
.LBB1_1387:                             ;   in Loop: Header=BB1_2 Depth=1
	s_and_not1_saveexec_b32 s95, s95
; %bb.1388:                             ;   in Loop: Header=BB1_2 Depth=1
	s_delay_alu instid0(VALU_DEP_1)
	v_or_b32_e32 v9, 0x1000, v9
; %bb.1389:                             ;   in Loop: Header=BB1_2 Depth=1
	s_or_b32 exec_lo, exec_lo, s95
.LBB1_1390:                             ;   in Loop: Header=BB1_2 Depth=1
	s_and_not1_saveexec_b32 s94, s94
; %bb.1391:                             ;   in Loop: Header=BB1_2 Depth=1
	s_delay_alu instid0(VALU_DEP_1)
	v_or_b32_e32 v9, 0x1400, v9
; %bb.1392:                             ;   in Loop: Header=BB1_2 Depth=1
	s_or_b32 exec_lo, exec_lo, s94
.LBB1_1393:                             ;   in Loop: Header=BB1_2 Depth=1
	s_and_not1_saveexec_b32 s93, s93
; %bb.1394:                             ;   in Loop: Header=BB1_2 Depth=1
	s_delay_alu instid0(VALU_DEP_1)
	v_or_b32_e32 v9, 0x1800, v9
; %bb.1395:                             ;   in Loop: Header=BB1_2 Depth=1
	s_or_b32 exec_lo, exec_lo, s93
.LBB1_1396:                             ;   in Loop: Header=BB1_2 Depth=1
	s_and_not1_saveexec_b32 s92, s92
; %bb.1397:                             ;   in Loop: Header=BB1_2 Depth=1
	s_delay_alu instid0(VALU_DEP_1)
	v_or_b32_e32 v9, 0x1c00, v9
; %bb.1398:                             ;   in Loop: Header=BB1_2 Depth=1
	s_or_b32 exec_lo, exec_lo, s92
.LBB1_1399:                             ;   in Loop: Header=BB1_2 Depth=1
	s_and_not1_saveexec_b32 s91, s91
; %bb.1400:                             ;   in Loop: Header=BB1_2 Depth=1
	s_delay_alu instid0(VALU_DEP_1)
	v_or_b32_e32 v9, 0x2000, v9
; %bb.1401:                             ;   in Loop: Header=BB1_2 Depth=1
	s_or_b32 exec_lo, exec_lo, s91
.LBB1_1402:                             ;   in Loop: Header=BB1_2 Depth=1
	s_and_not1_saveexec_b32 s90, s90
; %bb.1403:                             ;   in Loop: Header=BB1_2 Depth=1
	s_delay_alu instid0(VALU_DEP_1)
	v_or_b32_e32 v9, 0x2400, v9
; %bb.1404:                             ;   in Loop: Header=BB1_2 Depth=1
	s_or_b32 exec_lo, exec_lo, s90
.LBB1_1405:                             ;   in Loop: Header=BB1_2 Depth=1
	s_and_not1_saveexec_b32 s89, s89
; %bb.1406:                             ;   in Loop: Header=BB1_2 Depth=1
	s_delay_alu instid0(VALU_DEP_1)
	v_or_b32_e32 v9, 0x2800, v9
; %bb.1407:                             ;   in Loop: Header=BB1_2 Depth=1
	s_or_b32 exec_lo, exec_lo, s89
.LBB1_1408:                             ;   in Loop: Header=BB1_2 Depth=1
	s_and_not1_saveexec_b32 s88, s88
; %bb.1409:                             ;   in Loop: Header=BB1_2 Depth=1
	s_delay_alu instid0(VALU_DEP_1)
	v_or_b32_e32 v9, 0x2c00, v9
; %bb.1410:                             ;   in Loop: Header=BB1_2 Depth=1
	s_or_b32 exec_lo, exec_lo, s88
.LBB1_1411:                             ;   in Loop: Header=BB1_2 Depth=1
	s_and_not1_saveexec_b32 s87, s87
; %bb.1412:                             ;   in Loop: Header=BB1_2 Depth=1
	s_delay_alu instid0(VALU_DEP_1)
	v_or_b32_e32 v9, 0x3000, v9
; %bb.1413:                             ;   in Loop: Header=BB1_2 Depth=1
	s_or_b32 exec_lo, exec_lo, s87
.LBB1_1414:                             ;   in Loop: Header=BB1_2 Depth=1
	s_and_not1_saveexec_b32 s86, s86
; %bb.1415:                             ;   in Loop: Header=BB1_2 Depth=1
	s_delay_alu instid0(VALU_DEP_1)
	v_or_b32_e32 v9, 0x3400, v9
; %bb.1416:                             ;   in Loop: Header=BB1_2 Depth=1
	s_or_b32 exec_lo, exec_lo, s86
.LBB1_1417:                             ;   in Loop: Header=BB1_2 Depth=1
	s_and_not1_saveexec_b32 s85, s85
; %bb.1418:                             ;   in Loop: Header=BB1_2 Depth=1
	s_delay_alu instid0(VALU_DEP_1)
	v_or_b32_e32 v9, 0x3800, v9
; %bb.1419:                             ;   in Loop: Header=BB1_2 Depth=1
	s_or_b32 exec_lo, exec_lo, s85
.LBB1_1420:                             ;   in Loop: Header=BB1_2 Depth=1
	s_and_not1_saveexec_b32 s84, s84
; %bb.1421:                             ;   in Loop: Header=BB1_2 Depth=1
	s_delay_alu instid0(VALU_DEP_1)
	v_or_b32_e32 v9, 0x3c00, v9
; %bb.1422:                             ;   in Loop: Header=BB1_2 Depth=1
	s_or_b32 exec_lo, exec_lo, s84
.LBB1_1423:                             ;   in Loop: Header=BB1_2 Depth=1
	s_and_not1_saveexec_b32 s83, s83
; %bb.1424:                             ;   in Loop: Header=BB1_2 Depth=1
	s_delay_alu instid0(VALU_DEP_1)
	v_or_b32_e32 v9, 0x4000, v9
; %bb.1425:                             ;   in Loop: Header=BB1_2 Depth=1
	s_or_b32 exec_lo, exec_lo, s83
.LBB1_1426:                             ;   in Loop: Header=BB1_2 Depth=1
	s_and_not1_saveexec_b32 s82, s82
; %bb.1427:                             ;   in Loop: Header=BB1_2 Depth=1
	s_delay_alu instid0(VALU_DEP_1)
	v_or_b32_e32 v9, 0x4400, v9
; %bb.1428:                             ;   in Loop: Header=BB1_2 Depth=1
	s_or_b32 exec_lo, exec_lo, s82
.LBB1_1429:                             ;   in Loop: Header=BB1_2 Depth=1
	s_and_not1_saveexec_b32 s81, s81
; %bb.1430:                             ;   in Loop: Header=BB1_2 Depth=1
	s_delay_alu instid0(VALU_DEP_1)
	v_or_b32_e32 v9, 0x4800, v9
; %bb.1431:                             ;   in Loop: Header=BB1_2 Depth=1
	s_or_b32 exec_lo, exec_lo, s81
.LBB1_1432:                             ;   in Loop: Header=BB1_2 Depth=1
	s_and_not1_saveexec_b32 s80, s80
; %bb.1433:                             ;   in Loop: Header=BB1_2 Depth=1
	s_delay_alu instid0(VALU_DEP_1)
	v_or_b32_e32 v9, 0x4c00, v9
; %bb.1434:                             ;   in Loop: Header=BB1_2 Depth=1
	s_or_b32 exec_lo, exec_lo, s80
.LBB1_1435:                             ;   in Loop: Header=BB1_2 Depth=1
	s_and_not1_saveexec_b32 s79, s79
; %bb.1436:                             ;   in Loop: Header=BB1_2 Depth=1
	s_delay_alu instid0(VALU_DEP_1)
	v_or_b32_e32 v9, 0x5000, v9
; %bb.1437:                             ;   in Loop: Header=BB1_2 Depth=1
	s_or_b32 exec_lo, exec_lo, s79
.LBB1_1438:                             ;   in Loop: Header=BB1_2 Depth=1
	s_and_not1_saveexec_b32 s78, s78
; %bb.1439:                             ;   in Loop: Header=BB1_2 Depth=1
	s_delay_alu instid0(VALU_DEP_1)
	v_or_b32_e32 v9, 0x5400, v9
; %bb.1440:                             ;   in Loop: Header=BB1_2 Depth=1
	s_or_b32 exec_lo, exec_lo, s78
.LBB1_1441:                             ;   in Loop: Header=BB1_2 Depth=1
	s_and_not1_saveexec_b32 s77, s77
; %bb.1442:                             ;   in Loop: Header=BB1_2 Depth=1
	s_delay_alu instid0(VALU_DEP_1)
	v_or_b32_e32 v9, 0x5800, v9
; %bb.1443:                             ;   in Loop: Header=BB1_2 Depth=1
	s_or_b32 exec_lo, exec_lo, s77
.LBB1_1444:                             ;   in Loop: Header=BB1_2 Depth=1
	s_and_not1_saveexec_b32 s76, s76
; %bb.1445:                             ;   in Loop: Header=BB1_2 Depth=1
	s_delay_alu instid0(VALU_DEP_1)
	v_or_b32_e32 v9, 0x5c00, v9
; %bb.1446:                             ;   in Loop: Header=BB1_2 Depth=1
	s_or_b32 exec_lo, exec_lo, s76
.LBB1_1447:                             ;   in Loop: Header=BB1_2 Depth=1
	s_and_not1_saveexec_b32 s75, s75
; %bb.1448:                             ;   in Loop: Header=BB1_2 Depth=1
	s_delay_alu instid0(VALU_DEP_1)
	v_or_b32_e32 v9, 0x6000, v9
; %bb.1449:                             ;   in Loop: Header=BB1_2 Depth=1
	s_or_b32 exec_lo, exec_lo, s75
.LBB1_1450:                             ;   in Loop: Header=BB1_2 Depth=1
	s_and_not1_saveexec_b32 s74, s74
; %bb.1451:                             ;   in Loop: Header=BB1_2 Depth=1
	s_delay_alu instid0(VALU_DEP_1)
	v_or_b32_e32 v9, 0x6400, v9
; %bb.1452:                             ;   in Loop: Header=BB1_2 Depth=1
	s_or_b32 exec_lo, exec_lo, s74
.LBB1_1453:                             ;   in Loop: Header=BB1_2 Depth=1
	s_and_not1_saveexec_b32 s73, s73
; %bb.1454:                             ;   in Loop: Header=BB1_2 Depth=1
	s_delay_alu instid0(VALU_DEP_1)
	v_or_b32_e32 v9, 0x6800, v9
; %bb.1455:                             ;   in Loop: Header=BB1_2 Depth=1
	s_or_b32 exec_lo, exec_lo, s73
.LBB1_1456:                             ;   in Loop: Header=BB1_2 Depth=1
	s_and_not1_saveexec_b32 s72, s72
; %bb.1457:                             ;   in Loop: Header=BB1_2 Depth=1
	s_delay_alu instid0(VALU_DEP_1)
	v_or_b32_e32 v9, 0x6c00, v9
; %bb.1458:                             ;   in Loop: Header=BB1_2 Depth=1
	s_or_b32 exec_lo, exec_lo, s72
.LBB1_1459:                             ;   in Loop: Header=BB1_2 Depth=1
	s_and_not1_saveexec_b32 s35, s35
; %bb.1460:                             ;   in Loop: Header=BB1_2 Depth=1
	s_delay_alu instid0(VALU_DEP_1)
	v_or_b32_e32 v9, 0x7000, v9
; %bb.1461:                             ;   in Loop: Header=BB1_2 Depth=1
	s_or_b32 exec_lo, exec_lo, s35
.LBB1_1462:                             ;   in Loop: Header=BB1_2 Depth=1
	s_and_not1_saveexec_b32 s34, s34
; %bb.1463:                             ;   in Loop: Header=BB1_2 Depth=1
	s_delay_alu instid0(VALU_DEP_1)
	v_or_b32_e32 v9, 0x7400, v9
; %bb.1464:                             ;   in Loop: Header=BB1_2 Depth=1
	s_or_b32 exec_lo, exec_lo, s34
.LBB1_1465:                             ;   in Loop: Header=BB1_2 Depth=1
	s_and_not1_saveexec_b32 s33, s33
; %bb.1466:                             ;   in Loop: Header=BB1_2 Depth=1
	s_delay_alu instid0(VALU_DEP_1)
	v_or_b32_e32 v9, 0x7800, v9
; %bb.1467:                             ;   in Loop: Header=BB1_2 Depth=1
	s_or_b32 exec_lo, exec_lo, s33
.LBB1_1468:                             ;   in Loop: Header=BB1_2 Depth=1
	s_and_not1_saveexec_b32 s31, s31
; %bb.1469:                             ;   in Loop: Header=BB1_2 Depth=1
	s_delay_alu instid0(VALU_DEP_1)
	v_or_b32_e32 v9, 0x7c00, v9
; %bb.1470:                             ;   in Loop: Header=BB1_2 Depth=1
	s_or_b32 exec_lo, exec_lo, s31
	v_mov_b32_e32 v0, s1
	s_mov_b32 s31, exec_lo
	ds_load_2addr_b64 v[10:13], v0 offset0:42 offset1:43
	ds_load_b64 v[14:15], v0 offset:352
	s_wait_dscnt 0x1
	v_mul_f64_e32 v[0:1], v[4:5], v[12:13]
	s_delay_alu instid0(VALU_DEP_1) | instskip(SKIP_1) | instid1(VALU_DEP_1)
	v_fmac_f64_e32 v[0:1], v[2:3], v[10:11]
	s_wait_dscnt 0x0
	v_fmac_f64_e32 v[0:1], v[6:7], v[14:15]
	s_delay_alu instid0(VALU_DEP_1)
	v_cmpx_ngt_f64_e32 s[28:29], v[0:1]
	s_xor_b32 s31, exec_lo, s31
	s_cbranch_execz .LBB1_1590
; %bb.1471:                             ;   in Loop: Header=BB1_2 Depth=1
	s_mov_b32 s33, exec_lo
	v_cmpx_ngt_f64_e32 s[70:71], v[0:1]
	s_xor_b32 s33, exec_lo, s33
	s_cbranch_execz .LBB1_1587
; %bb.1472:                             ;   in Loop: Header=BB1_2 Depth=1
	s_mov_b32 s34, exec_lo
	;; [unrolled: 5-line block ×30, first 2 shown]
	v_cmpx_gt_f64_e32 s[52:53], v[0:1]
; %bb.1501:                             ;   in Loop: Header=BB1_2 Depth=1
	v_add_nc_u32_e32 v9, 0x40000, v9
; %bb.1502:                             ;   in Loop: Header=BB1_2 Depth=1
	s_or_b32 exec_lo, exec_lo, s98
.LBB1_1503:                             ;   in Loop: Header=BB1_2 Depth=1
	s_and_not1_saveexec_b32 s97, s97
; %bb.1504:                             ;   in Loop: Header=BB1_2 Depth=1
	s_delay_alu instid0(VALU_DEP_1)
	v_add_nc_u32_e32 v9, 0x80000, v9
; %bb.1505:                             ;   in Loop: Header=BB1_2 Depth=1
	s_or_b32 exec_lo, exec_lo, s97
.LBB1_1506:                             ;   in Loop: Header=BB1_2 Depth=1
	s_and_not1_saveexec_b32 s96, s96
; %bb.1507:                             ;   in Loop: Header=BB1_2 Depth=1
	s_delay_alu instid0(VALU_DEP_1)
	v_add_nc_u32_e32 v9, 0xc0000, v9
; %bb.1508:                             ;   in Loop: Header=BB1_2 Depth=1
	s_or_b32 exec_lo, exec_lo, s96
.LBB1_1509:                             ;   in Loop: Header=BB1_2 Depth=1
	s_and_not1_saveexec_b32 s95, s95
; %bb.1510:                             ;   in Loop: Header=BB1_2 Depth=1
	s_delay_alu instid0(VALU_DEP_1)
	v_add_nc_u32_e32 v9, 0x100000, v9
; %bb.1511:                             ;   in Loop: Header=BB1_2 Depth=1
	s_or_b32 exec_lo, exec_lo, s95
.LBB1_1512:                             ;   in Loop: Header=BB1_2 Depth=1
	s_and_not1_saveexec_b32 s94, s94
; %bb.1513:                             ;   in Loop: Header=BB1_2 Depth=1
	s_delay_alu instid0(VALU_DEP_1)
	v_add_nc_u32_e32 v9, 0x140000, v9
; %bb.1514:                             ;   in Loop: Header=BB1_2 Depth=1
	s_or_b32 exec_lo, exec_lo, s94
.LBB1_1515:                             ;   in Loop: Header=BB1_2 Depth=1
	s_and_not1_saveexec_b32 s93, s93
; %bb.1516:                             ;   in Loop: Header=BB1_2 Depth=1
	s_delay_alu instid0(VALU_DEP_1)
	v_add_nc_u32_e32 v9, 0x180000, v9
; %bb.1517:                             ;   in Loop: Header=BB1_2 Depth=1
	s_or_b32 exec_lo, exec_lo, s93
.LBB1_1518:                             ;   in Loop: Header=BB1_2 Depth=1
	s_and_not1_saveexec_b32 s92, s92
; %bb.1519:                             ;   in Loop: Header=BB1_2 Depth=1
	s_delay_alu instid0(VALU_DEP_1)
	v_add_nc_u32_e32 v9, 0x1c0000, v9
; %bb.1520:                             ;   in Loop: Header=BB1_2 Depth=1
	s_or_b32 exec_lo, exec_lo, s92
.LBB1_1521:                             ;   in Loop: Header=BB1_2 Depth=1
	s_and_not1_saveexec_b32 s91, s91
; %bb.1522:                             ;   in Loop: Header=BB1_2 Depth=1
	s_delay_alu instid0(VALU_DEP_1)
	v_add_nc_u32_e32 v9, 0x200000, v9
; %bb.1523:                             ;   in Loop: Header=BB1_2 Depth=1
	s_or_b32 exec_lo, exec_lo, s91
.LBB1_1524:                             ;   in Loop: Header=BB1_2 Depth=1
	s_and_not1_saveexec_b32 s90, s90
; %bb.1525:                             ;   in Loop: Header=BB1_2 Depth=1
	s_delay_alu instid0(VALU_DEP_1)
	v_add_nc_u32_e32 v9, 0x240000, v9
; %bb.1526:                             ;   in Loop: Header=BB1_2 Depth=1
	s_or_b32 exec_lo, exec_lo, s90
.LBB1_1527:                             ;   in Loop: Header=BB1_2 Depth=1
	s_and_not1_saveexec_b32 s89, s89
; %bb.1528:                             ;   in Loop: Header=BB1_2 Depth=1
	s_delay_alu instid0(VALU_DEP_1)
	v_add_nc_u32_e32 v9, 0x280000, v9
; %bb.1529:                             ;   in Loop: Header=BB1_2 Depth=1
	s_or_b32 exec_lo, exec_lo, s89
.LBB1_1530:                             ;   in Loop: Header=BB1_2 Depth=1
	s_and_not1_saveexec_b32 s88, s88
; %bb.1531:                             ;   in Loop: Header=BB1_2 Depth=1
	s_delay_alu instid0(VALU_DEP_1)
	v_add_nc_u32_e32 v9, 0x2c0000, v9
; %bb.1532:                             ;   in Loop: Header=BB1_2 Depth=1
	s_or_b32 exec_lo, exec_lo, s88
.LBB1_1533:                             ;   in Loop: Header=BB1_2 Depth=1
	s_and_not1_saveexec_b32 s87, s87
; %bb.1534:                             ;   in Loop: Header=BB1_2 Depth=1
	s_delay_alu instid0(VALU_DEP_1)
	v_add_nc_u32_e32 v9, 0x300000, v9
; %bb.1535:                             ;   in Loop: Header=BB1_2 Depth=1
	s_or_b32 exec_lo, exec_lo, s87
.LBB1_1536:                             ;   in Loop: Header=BB1_2 Depth=1
	s_and_not1_saveexec_b32 s86, s86
; %bb.1537:                             ;   in Loop: Header=BB1_2 Depth=1
	s_delay_alu instid0(VALU_DEP_1)
	v_add_nc_u32_e32 v9, 0x340000, v9
; %bb.1538:                             ;   in Loop: Header=BB1_2 Depth=1
	s_or_b32 exec_lo, exec_lo, s86
.LBB1_1539:                             ;   in Loop: Header=BB1_2 Depth=1
	s_and_not1_saveexec_b32 s85, s85
; %bb.1540:                             ;   in Loop: Header=BB1_2 Depth=1
	s_delay_alu instid0(VALU_DEP_1)
	v_add_nc_u32_e32 v9, 0x380000, v9
; %bb.1541:                             ;   in Loop: Header=BB1_2 Depth=1
	s_or_b32 exec_lo, exec_lo, s85
.LBB1_1542:                             ;   in Loop: Header=BB1_2 Depth=1
	s_and_not1_saveexec_b32 s84, s84
; %bb.1543:                             ;   in Loop: Header=BB1_2 Depth=1
	s_delay_alu instid0(VALU_DEP_1)
	v_add_nc_u32_e32 v9, 0x3c0000, v9
; %bb.1544:                             ;   in Loop: Header=BB1_2 Depth=1
	s_or_b32 exec_lo, exec_lo, s84
.LBB1_1545:                             ;   in Loop: Header=BB1_2 Depth=1
	s_and_not1_saveexec_b32 s83, s83
; %bb.1546:                             ;   in Loop: Header=BB1_2 Depth=1
	s_delay_alu instid0(VALU_DEP_1)
	v_add_nc_u32_e32 v9, 0x400000, v9
; %bb.1547:                             ;   in Loop: Header=BB1_2 Depth=1
	s_or_b32 exec_lo, exec_lo, s83
.LBB1_1548:                             ;   in Loop: Header=BB1_2 Depth=1
	s_and_not1_saveexec_b32 s82, s82
; %bb.1549:                             ;   in Loop: Header=BB1_2 Depth=1
	s_delay_alu instid0(VALU_DEP_1)
	v_add_nc_u32_e32 v9, 0x440000, v9
; %bb.1550:                             ;   in Loop: Header=BB1_2 Depth=1
	s_or_b32 exec_lo, exec_lo, s82
.LBB1_1551:                             ;   in Loop: Header=BB1_2 Depth=1
	s_and_not1_saveexec_b32 s81, s81
; %bb.1552:                             ;   in Loop: Header=BB1_2 Depth=1
	s_delay_alu instid0(VALU_DEP_1)
	v_add_nc_u32_e32 v9, 0x480000, v9
; %bb.1553:                             ;   in Loop: Header=BB1_2 Depth=1
	s_or_b32 exec_lo, exec_lo, s81
.LBB1_1554:                             ;   in Loop: Header=BB1_2 Depth=1
	s_and_not1_saveexec_b32 s80, s80
; %bb.1555:                             ;   in Loop: Header=BB1_2 Depth=1
	s_delay_alu instid0(VALU_DEP_1)
	v_add_nc_u32_e32 v9, 0x4c0000, v9
; %bb.1556:                             ;   in Loop: Header=BB1_2 Depth=1
	s_or_b32 exec_lo, exec_lo, s80
.LBB1_1557:                             ;   in Loop: Header=BB1_2 Depth=1
	s_and_not1_saveexec_b32 s79, s79
; %bb.1558:                             ;   in Loop: Header=BB1_2 Depth=1
	s_delay_alu instid0(VALU_DEP_1)
	v_add_nc_u32_e32 v9, 0x500000, v9
; %bb.1559:                             ;   in Loop: Header=BB1_2 Depth=1
	s_or_b32 exec_lo, exec_lo, s79
.LBB1_1560:                             ;   in Loop: Header=BB1_2 Depth=1
	s_and_not1_saveexec_b32 s78, s78
; %bb.1561:                             ;   in Loop: Header=BB1_2 Depth=1
	s_delay_alu instid0(VALU_DEP_1)
	v_add_nc_u32_e32 v9, 0x540000, v9
; %bb.1562:                             ;   in Loop: Header=BB1_2 Depth=1
	s_or_b32 exec_lo, exec_lo, s78
.LBB1_1563:                             ;   in Loop: Header=BB1_2 Depth=1
	s_and_not1_saveexec_b32 s77, s77
; %bb.1564:                             ;   in Loop: Header=BB1_2 Depth=1
	s_delay_alu instid0(VALU_DEP_1)
	v_add_nc_u32_e32 v9, 0x580000, v9
; %bb.1565:                             ;   in Loop: Header=BB1_2 Depth=1
	s_or_b32 exec_lo, exec_lo, s77
.LBB1_1566:                             ;   in Loop: Header=BB1_2 Depth=1
	s_and_not1_saveexec_b32 s76, s76
; %bb.1567:                             ;   in Loop: Header=BB1_2 Depth=1
	s_delay_alu instid0(VALU_DEP_1)
	v_add_nc_u32_e32 v9, 0x5c0000, v9
; %bb.1568:                             ;   in Loop: Header=BB1_2 Depth=1
	s_or_b32 exec_lo, exec_lo, s76
.LBB1_1569:                             ;   in Loop: Header=BB1_2 Depth=1
	s_and_not1_saveexec_b32 s75, s75
; %bb.1570:                             ;   in Loop: Header=BB1_2 Depth=1
	s_delay_alu instid0(VALU_DEP_1)
	v_add_nc_u32_e32 v9, 0x600000, v9
; %bb.1571:                             ;   in Loop: Header=BB1_2 Depth=1
	s_or_b32 exec_lo, exec_lo, s75
.LBB1_1572:                             ;   in Loop: Header=BB1_2 Depth=1
	s_and_not1_saveexec_b32 s74, s74
; %bb.1573:                             ;   in Loop: Header=BB1_2 Depth=1
	s_delay_alu instid0(VALU_DEP_1)
	v_add_nc_u32_e32 v9, 0x640000, v9
; %bb.1574:                             ;   in Loop: Header=BB1_2 Depth=1
	s_or_b32 exec_lo, exec_lo, s74
.LBB1_1575:                             ;   in Loop: Header=BB1_2 Depth=1
	s_and_not1_saveexec_b32 s73, s73
; %bb.1576:                             ;   in Loop: Header=BB1_2 Depth=1
	s_delay_alu instid0(VALU_DEP_1)
	v_add_nc_u32_e32 v9, 0x680000, v9
; %bb.1577:                             ;   in Loop: Header=BB1_2 Depth=1
	s_or_b32 exec_lo, exec_lo, s73
.LBB1_1578:                             ;   in Loop: Header=BB1_2 Depth=1
	s_and_not1_saveexec_b32 s72, s72
; %bb.1579:                             ;   in Loop: Header=BB1_2 Depth=1
	s_delay_alu instid0(VALU_DEP_1)
	v_add_nc_u32_e32 v9, 0x6c0000, v9
; %bb.1580:                             ;   in Loop: Header=BB1_2 Depth=1
	s_or_b32 exec_lo, exec_lo, s72
.LBB1_1581:                             ;   in Loop: Header=BB1_2 Depth=1
	s_and_not1_saveexec_b32 s35, s35
; %bb.1582:                             ;   in Loop: Header=BB1_2 Depth=1
	s_delay_alu instid0(VALU_DEP_1)
	v_add_nc_u32_e32 v9, 0x700000, v9
; %bb.1583:                             ;   in Loop: Header=BB1_2 Depth=1
	s_or_b32 exec_lo, exec_lo, s35
.LBB1_1584:                             ;   in Loop: Header=BB1_2 Depth=1
	s_and_not1_saveexec_b32 s34, s34
; %bb.1585:                             ;   in Loop: Header=BB1_2 Depth=1
	s_delay_alu instid0(VALU_DEP_1)
	v_add_nc_u32_e32 v9, 0x740000, v9
; %bb.1586:                             ;   in Loop: Header=BB1_2 Depth=1
	s_or_b32 exec_lo, exec_lo, s34
.LBB1_1587:                             ;   in Loop: Header=BB1_2 Depth=1
	s_and_not1_saveexec_b32 s33, s33
; %bb.1588:                             ;   in Loop: Header=BB1_2 Depth=1
	s_delay_alu instid0(VALU_DEP_1)
	v_add_nc_u32_e32 v9, 0x780000, v9
; %bb.1589:                             ;   in Loop: Header=BB1_2 Depth=1
	s_or_b32 exec_lo, exec_lo, s33
.LBB1_1590:                             ;   in Loop: Header=BB1_2 Depth=1
	s_and_not1_saveexec_b32 s31, s31
; %bb.1591:                             ;   in Loop: Header=BB1_2 Depth=1
	s_delay_alu instid0(VALU_DEP_1)
	v_add_nc_u32_e32 v9, 0x7c0000, v9
; %bb.1592:                             ;   in Loop: Header=BB1_2 Depth=1
	s_or_b32 exec_lo, exec_lo, s31
	v_mov_b32_e32 v0, s1
	s_mov_b32 s31, exec_lo
	ds_load_2addr_b64 v[10:13], v0 offset0:45 offset1:46
	ds_load_b64 v[14:15], v0 offset:376
	s_wait_dscnt 0x1
	v_mul_f64_e32 v[0:1], v[4:5], v[12:13]
	s_delay_alu instid0(VALU_DEP_1) | instskip(SKIP_1) | instid1(VALU_DEP_1)
	v_fmac_f64_e32 v[0:1], v[2:3], v[10:11]
	s_wait_dscnt 0x0
	v_fmac_f64_e32 v[0:1], v[6:7], v[14:15]
	s_delay_alu instid0(VALU_DEP_1)
	v_cmpx_ngt_f64_e32 s[28:29], v[0:1]
	s_xor_b32 s31, exec_lo, s31
	s_cbranch_execz .LBB1_1712
; %bb.1593:                             ;   in Loop: Header=BB1_2 Depth=1
	s_mov_b32 s33, exec_lo
	v_cmpx_ngt_f64_e32 s[70:71], v[0:1]
	s_xor_b32 s33, exec_lo, s33
	s_cbranch_execz .LBB1_1709
; %bb.1594:                             ;   in Loop: Header=BB1_2 Depth=1
	s_mov_b32 s34, exec_lo
	v_cmpx_ngt_f64_e32 s[68:69], v[0:1]
	s_xor_b32 s34, exec_lo, s34
	s_cbranch_execz .LBB1_1706
; %bb.1595:                             ;   in Loop: Header=BB1_2 Depth=1
	s_mov_b32 s35, exec_lo
	v_cmpx_ngt_f64_e32 s[26:27], v[0:1]
	s_xor_b32 s35, exec_lo, s35
	s_cbranch_execz .LBB1_1703
; %bb.1596:                             ;   in Loop: Header=BB1_2 Depth=1
	s_mov_b32 s72, exec_lo
	v_cmpx_ngt_f64_e32 s[24:25], v[0:1]
	s_xor_b32 s72, exec_lo, s72
	s_cbranch_execz .LBB1_1700
; %bb.1597:                             ;   in Loop: Header=BB1_2 Depth=1
	s_mov_b32 s73, exec_lo
	v_cmpx_ngt_f64_e32 s[22:23], v[0:1]
	s_xor_b32 s73, exec_lo, s73
	s_cbranch_execz .LBB1_1697
; %bb.1598:                             ;   in Loop: Header=BB1_2 Depth=1
	s_mov_b32 s74, exec_lo
	v_cmpx_ngt_f64_e32 s[20:21], v[0:1]
	s_xor_b32 s74, exec_lo, s74
	s_cbranch_execz .LBB1_1694
; %bb.1599:                             ;   in Loop: Header=BB1_2 Depth=1
	s_mov_b32 s75, exec_lo
	v_cmpx_ngt_f64_e32 s[18:19], v[0:1]
	s_xor_b32 s75, exec_lo, s75
	s_cbranch_execz .LBB1_1691
; %bb.1600:                             ;   in Loop: Header=BB1_2 Depth=1
	s_mov_b32 s76, exec_lo
	v_cmpx_ngt_f64_e32 s[16:17], v[0:1]
	s_xor_b32 s76, exec_lo, s76
	s_cbranch_execz .LBB1_1688
; %bb.1601:                             ;   in Loop: Header=BB1_2 Depth=1
	s_mov_b32 s77, exec_lo
	v_cmpx_ngt_f64_e32 s[14:15], v[0:1]
	s_xor_b32 s77, exec_lo, s77
	s_cbranch_execz .LBB1_1685
; %bb.1602:                             ;   in Loop: Header=BB1_2 Depth=1
	s_mov_b32 s78, exec_lo
	v_cmpx_ngt_f64_e32 s[12:13], v[0:1]
	s_xor_b32 s78, exec_lo, s78
	s_cbranch_execz .LBB1_1682
; %bb.1603:                             ;   in Loop: Header=BB1_2 Depth=1
	s_mov_b32 s79, exec_lo
	v_cmpx_ngt_f64_e32 s[10:11], v[0:1]
	s_xor_b32 s79, exec_lo, s79
	s_cbranch_execz .LBB1_1679
; %bb.1604:                             ;   in Loop: Header=BB1_2 Depth=1
	s_mov_b32 s80, exec_lo
	v_cmpx_ngt_f64_e32 s[8:9], v[0:1]
	s_xor_b32 s80, exec_lo, s80
	s_cbranch_execz .LBB1_1676
; %bb.1605:                             ;   in Loop: Header=BB1_2 Depth=1
	s_mov_b32 s81, exec_lo
	v_cmpx_ngt_f64_e32 s[6:7], v[0:1]
	s_xor_b32 s81, exec_lo, s81
	s_cbranch_execz .LBB1_1673
; %bb.1606:                             ;   in Loop: Header=BB1_2 Depth=1
	s_mov_b32 s82, exec_lo
	v_cmpx_ngt_f64_e32 s[4:5], v[0:1]
	s_xor_b32 s82, exec_lo, s82
	s_cbranch_execz .LBB1_1670
; %bb.1607:                             ;   in Loop: Header=BB1_2 Depth=1
	s_mov_b32 s83, exec_lo
	v_cmpx_ngt_f64_e32 s[50:51], v[0:1]
	s_xor_b32 s83, exec_lo, s83
	s_cbranch_execz .LBB1_1667
; %bb.1608:                             ;   in Loop: Header=BB1_2 Depth=1
	s_mov_b32 s84, exec_lo
	v_cmpx_ngt_f64_e32 s[48:49], v[0:1]
	s_xor_b32 s84, exec_lo, s84
	s_cbranch_execz .LBB1_1664
; %bb.1609:                             ;   in Loop: Header=BB1_2 Depth=1
	s_mov_b32 s85, exec_lo
	v_cmpx_ngt_f64_e32 s[46:47], v[0:1]
	s_xor_b32 s85, exec_lo, s85
	s_cbranch_execz .LBB1_1661
; %bb.1610:                             ;   in Loop: Header=BB1_2 Depth=1
	s_mov_b32 s86, exec_lo
	v_cmpx_ngt_f64_e32 s[44:45], v[0:1]
	s_xor_b32 s86, exec_lo, s86
	s_cbranch_execz .LBB1_1658
; %bb.1611:                             ;   in Loop: Header=BB1_2 Depth=1
	s_mov_b32 s87, exec_lo
	v_cmpx_ngt_f64_e32 s[42:43], v[0:1]
	s_xor_b32 s87, exec_lo, s87
	s_cbranch_execz .LBB1_1655
; %bb.1612:                             ;   in Loop: Header=BB1_2 Depth=1
	s_mov_b32 s88, exec_lo
	v_cmpx_ngt_f64_e32 s[40:41], v[0:1]
	s_xor_b32 s88, exec_lo, s88
	s_cbranch_execz .LBB1_1652
; %bb.1613:                             ;   in Loop: Header=BB1_2 Depth=1
	s_mov_b32 s89, exec_lo
	v_cmpx_ngt_f64_e32 s[38:39], v[0:1]
	s_xor_b32 s89, exec_lo, s89
	s_cbranch_execz .LBB1_1649
; %bb.1614:                             ;   in Loop: Header=BB1_2 Depth=1
	s_mov_b32 s90, exec_lo
	v_cmpx_ngt_f64_e32 s[36:37], v[0:1]
	s_xor_b32 s90, exec_lo, s90
	s_cbranch_execz .LBB1_1646
; %bb.1615:                             ;   in Loop: Header=BB1_2 Depth=1
	s_mov_b32 s91, exec_lo
	v_cmpx_ngt_f64_e32 s[66:67], v[0:1]
	s_xor_b32 s91, exec_lo, s91
	s_cbranch_execz .LBB1_1643
; %bb.1616:                             ;   in Loop: Header=BB1_2 Depth=1
	s_mov_b32 s92, exec_lo
	v_cmpx_ngt_f64_e32 s[64:65], v[0:1]
	s_xor_b32 s92, exec_lo, s92
	s_cbranch_execz .LBB1_1640
; %bb.1617:                             ;   in Loop: Header=BB1_2 Depth=1
	s_mov_b32 s93, exec_lo
	v_cmpx_ngt_f64_e32 s[62:63], v[0:1]
	s_xor_b32 s93, exec_lo, s93
	s_cbranch_execz .LBB1_1637
; %bb.1618:                             ;   in Loop: Header=BB1_2 Depth=1
	s_mov_b32 s94, exec_lo
	v_cmpx_ngt_f64_e32 s[60:61], v[0:1]
	s_xor_b32 s94, exec_lo, s94
	s_cbranch_execz .LBB1_1634
; %bb.1619:                             ;   in Loop: Header=BB1_2 Depth=1
	s_mov_b32 s95, exec_lo
	v_cmpx_ngt_f64_e32 s[58:59], v[0:1]
	s_xor_b32 s95, exec_lo, s95
	s_cbranch_execz .LBB1_1631
; %bb.1620:                             ;   in Loop: Header=BB1_2 Depth=1
	s_mov_b32 s96, exec_lo
	v_cmpx_ngt_f64_e32 s[56:57], v[0:1]
	s_xor_b32 s96, exec_lo, s96
	s_cbranch_execz .LBB1_1628
; %bb.1621:                             ;   in Loop: Header=BB1_2 Depth=1
	s_mov_b32 s97, exec_lo
	v_cmpx_ngt_f64_e32 s[54:55], v[0:1]
	s_xor_b32 s97, exec_lo, s97
	s_cbranch_execz .LBB1_1625
; %bb.1622:                             ;   in Loop: Header=BB1_2 Depth=1
	s_mov_b32 s98, exec_lo
	v_cmpx_gt_f64_e32 s[52:53], v[0:1]
; %bb.1623:                             ;   in Loop: Header=BB1_2 Depth=1
	v_add_nc_u32_e32 v9, 0x4000000, v9
; %bb.1624:                             ;   in Loop: Header=BB1_2 Depth=1
	s_or_b32 exec_lo, exec_lo, s98
.LBB1_1625:                             ;   in Loop: Header=BB1_2 Depth=1
	s_and_not1_saveexec_b32 s97, s97
; %bb.1626:                             ;   in Loop: Header=BB1_2 Depth=1
	s_delay_alu instid0(VALU_DEP_1)
	v_add_nc_u32_e32 v9, 0x8000000, v9
; %bb.1627:                             ;   in Loop: Header=BB1_2 Depth=1
	s_or_b32 exec_lo, exec_lo, s97
.LBB1_1628:                             ;   in Loop: Header=BB1_2 Depth=1
	s_and_not1_saveexec_b32 s96, s96
; %bb.1629:                             ;   in Loop: Header=BB1_2 Depth=1
	s_delay_alu instid0(VALU_DEP_1)
	v_add_nc_u32_e32 v9, 0xc000000, v9
; %bb.1630:                             ;   in Loop: Header=BB1_2 Depth=1
	s_or_b32 exec_lo, exec_lo, s96
.LBB1_1631:                             ;   in Loop: Header=BB1_2 Depth=1
	s_and_not1_saveexec_b32 s95, s95
; %bb.1632:                             ;   in Loop: Header=BB1_2 Depth=1
	s_delay_alu instid0(VALU_DEP_1)
	v_add_nc_u32_e32 v9, 0x10000000, v9
; %bb.1633:                             ;   in Loop: Header=BB1_2 Depth=1
	s_or_b32 exec_lo, exec_lo, s95
.LBB1_1634:                             ;   in Loop: Header=BB1_2 Depth=1
	s_and_not1_saveexec_b32 s94, s94
; %bb.1635:                             ;   in Loop: Header=BB1_2 Depth=1
	s_delay_alu instid0(VALU_DEP_1)
	v_add_nc_u32_e32 v9, 0x14000000, v9
; %bb.1636:                             ;   in Loop: Header=BB1_2 Depth=1
	s_or_b32 exec_lo, exec_lo, s94
.LBB1_1637:                             ;   in Loop: Header=BB1_2 Depth=1
	s_and_not1_saveexec_b32 s93, s93
; %bb.1638:                             ;   in Loop: Header=BB1_2 Depth=1
	s_delay_alu instid0(VALU_DEP_1)
	v_add_nc_u32_e32 v9, 0x18000000, v9
; %bb.1639:                             ;   in Loop: Header=BB1_2 Depth=1
	s_or_b32 exec_lo, exec_lo, s93
.LBB1_1640:                             ;   in Loop: Header=BB1_2 Depth=1
	s_and_not1_saveexec_b32 s92, s92
; %bb.1641:                             ;   in Loop: Header=BB1_2 Depth=1
	s_delay_alu instid0(VALU_DEP_1)
	v_add_nc_u32_e32 v9, 0x1c000000, v9
; %bb.1642:                             ;   in Loop: Header=BB1_2 Depth=1
	s_or_b32 exec_lo, exec_lo, s92
.LBB1_1643:                             ;   in Loop: Header=BB1_2 Depth=1
	s_and_not1_saveexec_b32 s91, s91
; %bb.1644:                             ;   in Loop: Header=BB1_2 Depth=1
	s_delay_alu instid0(VALU_DEP_1)
	v_add_nc_u32_e32 v9, 0x20000000, v9
; %bb.1645:                             ;   in Loop: Header=BB1_2 Depth=1
	s_or_b32 exec_lo, exec_lo, s91
.LBB1_1646:                             ;   in Loop: Header=BB1_2 Depth=1
	s_and_not1_saveexec_b32 s90, s90
; %bb.1647:                             ;   in Loop: Header=BB1_2 Depth=1
	s_delay_alu instid0(VALU_DEP_1)
	v_add_nc_u32_e32 v9, 0x24000000, v9
; %bb.1648:                             ;   in Loop: Header=BB1_2 Depth=1
	s_or_b32 exec_lo, exec_lo, s90
.LBB1_1649:                             ;   in Loop: Header=BB1_2 Depth=1
	s_and_not1_saveexec_b32 s89, s89
; %bb.1650:                             ;   in Loop: Header=BB1_2 Depth=1
	s_delay_alu instid0(VALU_DEP_1)
	v_add_nc_u32_e32 v9, 0x28000000, v9
; %bb.1651:                             ;   in Loop: Header=BB1_2 Depth=1
	s_or_b32 exec_lo, exec_lo, s89
.LBB1_1652:                             ;   in Loop: Header=BB1_2 Depth=1
	s_and_not1_saveexec_b32 s88, s88
; %bb.1653:                             ;   in Loop: Header=BB1_2 Depth=1
	s_delay_alu instid0(VALU_DEP_1)
	v_add_nc_u32_e32 v9, 0x2c000000, v9
; %bb.1654:                             ;   in Loop: Header=BB1_2 Depth=1
	s_or_b32 exec_lo, exec_lo, s88
.LBB1_1655:                             ;   in Loop: Header=BB1_2 Depth=1
	s_and_not1_saveexec_b32 s87, s87
; %bb.1656:                             ;   in Loop: Header=BB1_2 Depth=1
	s_delay_alu instid0(VALU_DEP_1)
	v_add_nc_u32_e32 v9, 0x30000000, v9
; %bb.1657:                             ;   in Loop: Header=BB1_2 Depth=1
	s_or_b32 exec_lo, exec_lo, s87
.LBB1_1658:                             ;   in Loop: Header=BB1_2 Depth=1
	s_and_not1_saveexec_b32 s86, s86
; %bb.1659:                             ;   in Loop: Header=BB1_2 Depth=1
	s_delay_alu instid0(VALU_DEP_1)
	v_add_nc_u32_e32 v9, 0x34000000, v9
; %bb.1660:                             ;   in Loop: Header=BB1_2 Depth=1
	s_or_b32 exec_lo, exec_lo, s86
.LBB1_1661:                             ;   in Loop: Header=BB1_2 Depth=1
	s_and_not1_saveexec_b32 s85, s85
; %bb.1662:                             ;   in Loop: Header=BB1_2 Depth=1
	s_delay_alu instid0(VALU_DEP_1)
	v_add_nc_u32_e32 v9, 0x38000000, v9
; %bb.1663:                             ;   in Loop: Header=BB1_2 Depth=1
	s_or_b32 exec_lo, exec_lo, s85
.LBB1_1664:                             ;   in Loop: Header=BB1_2 Depth=1
	s_and_not1_saveexec_b32 s84, s84
; %bb.1665:                             ;   in Loop: Header=BB1_2 Depth=1
	s_delay_alu instid0(VALU_DEP_1)
	v_add_nc_u32_e32 v9, 0x3c000000, v9
; %bb.1666:                             ;   in Loop: Header=BB1_2 Depth=1
	s_or_b32 exec_lo, exec_lo, s84
.LBB1_1667:                             ;   in Loop: Header=BB1_2 Depth=1
	s_and_not1_saveexec_b32 s83, s83
; %bb.1668:                             ;   in Loop: Header=BB1_2 Depth=1
	s_delay_alu instid0(VALU_DEP_1)
	v_add_nc_u32_e32 v9, 2.0, v9
; %bb.1669:                             ;   in Loop: Header=BB1_2 Depth=1
	s_or_b32 exec_lo, exec_lo, s83
.LBB1_1670:                             ;   in Loop: Header=BB1_2 Depth=1
	s_and_not1_saveexec_b32 s82, s82
; %bb.1671:                             ;   in Loop: Header=BB1_2 Depth=1
	s_delay_alu instid0(VALU_DEP_1)
	v_add_nc_u32_e32 v9, 0x44000000, v9
; %bb.1672:                             ;   in Loop: Header=BB1_2 Depth=1
	s_or_b32 exec_lo, exec_lo, s82
.LBB1_1673:                             ;   in Loop: Header=BB1_2 Depth=1
	s_and_not1_saveexec_b32 s81, s81
; %bb.1674:                             ;   in Loop: Header=BB1_2 Depth=1
	s_delay_alu instid0(VALU_DEP_1)
	v_add_nc_u32_e32 v9, 0x48000000, v9
; %bb.1675:                             ;   in Loop: Header=BB1_2 Depth=1
	s_or_b32 exec_lo, exec_lo, s81
.LBB1_1676:                             ;   in Loop: Header=BB1_2 Depth=1
	s_and_not1_saveexec_b32 s80, s80
; %bb.1677:                             ;   in Loop: Header=BB1_2 Depth=1
	s_delay_alu instid0(VALU_DEP_1)
	v_add_nc_u32_e32 v9, 0x4c000000, v9
; %bb.1678:                             ;   in Loop: Header=BB1_2 Depth=1
	s_or_b32 exec_lo, exec_lo, s80
.LBB1_1679:                             ;   in Loop: Header=BB1_2 Depth=1
	s_and_not1_saveexec_b32 s79, s79
; %bb.1680:                             ;   in Loop: Header=BB1_2 Depth=1
	s_delay_alu instid0(VALU_DEP_1)
	v_add_nc_u32_e32 v9, 0x50000000, v9
; %bb.1681:                             ;   in Loop: Header=BB1_2 Depth=1
	s_or_b32 exec_lo, exec_lo, s79
.LBB1_1682:                             ;   in Loop: Header=BB1_2 Depth=1
	s_and_not1_saveexec_b32 s78, s78
; %bb.1683:                             ;   in Loop: Header=BB1_2 Depth=1
	s_delay_alu instid0(VALU_DEP_1)
	v_add_nc_u32_e32 v9, 0x54000000, v9
; %bb.1684:                             ;   in Loop: Header=BB1_2 Depth=1
	s_or_b32 exec_lo, exec_lo, s78
.LBB1_1685:                             ;   in Loop: Header=BB1_2 Depth=1
	s_and_not1_saveexec_b32 s77, s77
; %bb.1686:                             ;   in Loop: Header=BB1_2 Depth=1
	s_delay_alu instid0(VALU_DEP_1)
	v_add_nc_u32_e32 v9, 0x58000000, v9
; %bb.1687:                             ;   in Loop: Header=BB1_2 Depth=1
	s_or_b32 exec_lo, exec_lo, s77
.LBB1_1688:                             ;   in Loop: Header=BB1_2 Depth=1
	s_and_not1_saveexec_b32 s76, s76
; %bb.1689:                             ;   in Loop: Header=BB1_2 Depth=1
	s_delay_alu instid0(VALU_DEP_1)
	v_add_nc_u32_e32 v9, 0x5c000000, v9
; %bb.1690:                             ;   in Loop: Header=BB1_2 Depth=1
	s_or_b32 exec_lo, exec_lo, s76
.LBB1_1691:                             ;   in Loop: Header=BB1_2 Depth=1
	s_and_not1_saveexec_b32 s75, s75
; %bb.1692:                             ;   in Loop: Header=BB1_2 Depth=1
	s_delay_alu instid0(VALU_DEP_1)
	v_add_nc_u32_e32 v9, 0x60000000, v9
; %bb.1693:                             ;   in Loop: Header=BB1_2 Depth=1
	s_or_b32 exec_lo, exec_lo, s75
.LBB1_1694:                             ;   in Loop: Header=BB1_2 Depth=1
	s_and_not1_saveexec_b32 s74, s74
; %bb.1695:                             ;   in Loop: Header=BB1_2 Depth=1
	s_delay_alu instid0(VALU_DEP_1)
	v_add_nc_u32_e32 v9, 0x64000000, v9
; %bb.1696:                             ;   in Loop: Header=BB1_2 Depth=1
	s_or_b32 exec_lo, exec_lo, s74
.LBB1_1697:                             ;   in Loop: Header=BB1_2 Depth=1
	s_and_not1_saveexec_b32 s73, s73
; %bb.1698:                             ;   in Loop: Header=BB1_2 Depth=1
	s_delay_alu instid0(VALU_DEP_1)
	v_add_nc_u32_e32 v9, 0x68000000, v9
; %bb.1699:                             ;   in Loop: Header=BB1_2 Depth=1
	s_or_b32 exec_lo, exec_lo, s73
.LBB1_1700:                             ;   in Loop: Header=BB1_2 Depth=1
	s_and_not1_saveexec_b32 s72, s72
; %bb.1701:                             ;   in Loop: Header=BB1_2 Depth=1
	s_delay_alu instid0(VALU_DEP_1)
	v_add_nc_u32_e32 v9, 0x6c000000, v9
; %bb.1702:                             ;   in Loop: Header=BB1_2 Depth=1
	s_or_b32 exec_lo, exec_lo, s72
.LBB1_1703:                             ;   in Loop: Header=BB1_2 Depth=1
	s_and_not1_saveexec_b32 s35, s35
; %bb.1704:                             ;   in Loop: Header=BB1_2 Depth=1
	s_delay_alu instid0(VALU_DEP_1)
	v_add_nc_u32_e32 v9, 0x70000000, v9
; %bb.1705:                             ;   in Loop: Header=BB1_2 Depth=1
	s_or_b32 exec_lo, exec_lo, s35
.LBB1_1706:                             ;   in Loop: Header=BB1_2 Depth=1
	s_and_not1_saveexec_b32 s34, s34
; %bb.1707:                             ;   in Loop: Header=BB1_2 Depth=1
	s_delay_alu instid0(VALU_DEP_1)
	v_add_nc_u32_e32 v9, 0x74000000, v9
; %bb.1708:                             ;   in Loop: Header=BB1_2 Depth=1
	s_or_b32 exec_lo, exec_lo, s34
.LBB1_1709:                             ;   in Loop: Header=BB1_2 Depth=1
	s_and_not1_saveexec_b32 s33, s33
; %bb.1710:                             ;   in Loop: Header=BB1_2 Depth=1
	s_delay_alu instid0(VALU_DEP_1)
	v_add_nc_u32_e32 v9, 0x78000000, v9
; %bb.1711:                             ;   in Loop: Header=BB1_2 Depth=1
	s_or_b32 exec_lo, exec_lo, s33
.LBB1_1712:                             ;   in Loop: Header=BB1_2 Depth=1
	s_and_not1_saveexec_b32 s31, s31
; %bb.1713:                             ;   in Loop: Header=BB1_2 Depth=1
	s_delay_alu instid0(VALU_DEP_1)
	v_add_nc_u32_e32 v9, 0x7c000000, v9
; %bb.1714:                             ;   in Loop: Header=BB1_2 Depth=1
	s_or_b32 exec_lo, exec_lo, s31
	v_mov_b32_e32 v0, s1
	s_mov_b32 s31, exec_lo
	ds_load_2addr_b64 v[10:13], v0 offset0:48 offset1:49
	ds_load_b64 v[14:15], v0 offset:400
	s_wait_dscnt 0x1
	v_mul_f64_e32 v[0:1], v[4:5], v[12:13]
	s_delay_alu instid0(VALU_DEP_1)
	v_fmac_f64_e32 v[0:1], v[2:3], v[10:11]
	v_add3_u32 v11, v8, s30, 0xc000
	v_mov_b32_e32 v10, 0x7c
	global_store_b32 v11, v9, s[2:3] scale_offset
	s_wait_dscnt 0x0
	v_fmac_f64_e32 v[0:1], v[6:7], v[14:15]
	s_wait_xcnt 0x0
	s_delay_alu instid0(VALU_DEP_1)
	v_cmpx_ngt_f64_e32 s[28:29], v[0:1]
	s_cbranch_execz .LBB1_1776
; %bb.1715:                             ;   in Loop: Header=BB1_2 Depth=1
	v_mov_b32_e32 v10, 0x78
	s_mov_b32 s33, exec_lo
	v_cmpx_ngt_f64_e32 s[70:71], v[0:1]
	s_cbranch_execz .LBB1_1775
; %bb.1716:                             ;   in Loop: Header=BB1_2 Depth=1
	v_mov_b32_e32 v10, 0x74
	s_mov_b32 s34, exec_lo
	;; [unrolled: 5-line block ×30, first 2 shown]
	v_cmpx_gt_f64_e32 s[52:53], v[0:1]
; %bb.1745:                             ;   in Loop: Header=BB1_2 Depth=1
	v_mov_b32_e32 v10, 4
; %bb.1746:                             ;   in Loop: Header=BB1_2 Depth=1
	s_or_b32 exec_lo, exec_lo, s98
.LBB1_1747:                             ;   in Loop: Header=BB1_2 Depth=1
	s_delay_alu instid0(SALU_CYCLE_1)
	s_or_b32 exec_lo, exec_lo, s97
.LBB1_1748:                             ;   in Loop: Header=BB1_2 Depth=1
	s_delay_alu instid0(SALU_CYCLE_1)
	s_or_b32 exec_lo, exec_lo, s96
.LBB1_1749:                             ;   in Loop: Header=BB1_2 Depth=1
	s_delay_alu instid0(SALU_CYCLE_1)
	s_or_b32 exec_lo, exec_lo, s95
.LBB1_1750:                             ;   in Loop: Header=BB1_2 Depth=1
	s_delay_alu instid0(SALU_CYCLE_1)
	s_or_b32 exec_lo, exec_lo, s94
.LBB1_1751:                             ;   in Loop: Header=BB1_2 Depth=1
	s_delay_alu instid0(SALU_CYCLE_1)
	s_or_b32 exec_lo, exec_lo, s93
.LBB1_1752:                             ;   in Loop: Header=BB1_2 Depth=1
	s_delay_alu instid0(SALU_CYCLE_1)
	s_or_b32 exec_lo, exec_lo, s92
.LBB1_1753:                             ;   in Loop: Header=BB1_2 Depth=1
	s_delay_alu instid0(SALU_CYCLE_1)
	s_or_b32 exec_lo, exec_lo, s91
.LBB1_1754:                             ;   in Loop: Header=BB1_2 Depth=1
	s_delay_alu instid0(SALU_CYCLE_1)
	s_or_b32 exec_lo, exec_lo, s90
.LBB1_1755:                             ;   in Loop: Header=BB1_2 Depth=1
	s_delay_alu instid0(SALU_CYCLE_1)
	s_or_b32 exec_lo, exec_lo, s89
.LBB1_1756:                             ;   in Loop: Header=BB1_2 Depth=1
	s_delay_alu instid0(SALU_CYCLE_1)
	s_or_b32 exec_lo, exec_lo, s88
.LBB1_1757:                             ;   in Loop: Header=BB1_2 Depth=1
	s_delay_alu instid0(SALU_CYCLE_1)
	s_or_b32 exec_lo, exec_lo, s87
.LBB1_1758:                             ;   in Loop: Header=BB1_2 Depth=1
	s_delay_alu instid0(SALU_CYCLE_1)
	s_or_b32 exec_lo, exec_lo, s86
.LBB1_1759:                             ;   in Loop: Header=BB1_2 Depth=1
	s_delay_alu instid0(SALU_CYCLE_1)
	s_or_b32 exec_lo, exec_lo, s85
.LBB1_1760:                             ;   in Loop: Header=BB1_2 Depth=1
	s_delay_alu instid0(SALU_CYCLE_1)
	s_or_b32 exec_lo, exec_lo, s84
.LBB1_1761:                             ;   in Loop: Header=BB1_2 Depth=1
	s_delay_alu instid0(SALU_CYCLE_1)
	s_or_b32 exec_lo, exec_lo, s83
.LBB1_1762:                             ;   in Loop: Header=BB1_2 Depth=1
	s_delay_alu instid0(SALU_CYCLE_1)
	s_or_b32 exec_lo, exec_lo, s82
.LBB1_1763:                             ;   in Loop: Header=BB1_2 Depth=1
	s_delay_alu instid0(SALU_CYCLE_1)
	s_or_b32 exec_lo, exec_lo, s81
.LBB1_1764:                             ;   in Loop: Header=BB1_2 Depth=1
	s_delay_alu instid0(SALU_CYCLE_1)
	s_or_b32 exec_lo, exec_lo, s80
.LBB1_1765:                             ;   in Loop: Header=BB1_2 Depth=1
	s_delay_alu instid0(SALU_CYCLE_1)
	s_or_b32 exec_lo, exec_lo, s79
.LBB1_1766:                             ;   in Loop: Header=BB1_2 Depth=1
	s_delay_alu instid0(SALU_CYCLE_1)
	s_or_b32 exec_lo, exec_lo, s78
.LBB1_1767:                             ;   in Loop: Header=BB1_2 Depth=1
	s_delay_alu instid0(SALU_CYCLE_1)
	s_or_b32 exec_lo, exec_lo, s77
.LBB1_1768:                             ;   in Loop: Header=BB1_2 Depth=1
	s_delay_alu instid0(SALU_CYCLE_1)
	s_or_b32 exec_lo, exec_lo, s76
.LBB1_1769:                             ;   in Loop: Header=BB1_2 Depth=1
	s_delay_alu instid0(SALU_CYCLE_1)
	s_or_b32 exec_lo, exec_lo, s75
.LBB1_1770:                             ;   in Loop: Header=BB1_2 Depth=1
	s_delay_alu instid0(SALU_CYCLE_1)
	s_or_b32 exec_lo, exec_lo, s74
.LBB1_1771:                             ;   in Loop: Header=BB1_2 Depth=1
	s_delay_alu instid0(SALU_CYCLE_1)
	s_or_b32 exec_lo, exec_lo, s73
.LBB1_1772:                             ;   in Loop: Header=BB1_2 Depth=1
	s_delay_alu instid0(SALU_CYCLE_1)
	s_or_b32 exec_lo, exec_lo, s72
.LBB1_1773:                             ;   in Loop: Header=BB1_2 Depth=1
	s_delay_alu instid0(SALU_CYCLE_1)
	s_or_b32 exec_lo, exec_lo, s35
.LBB1_1774:                             ;   in Loop: Header=BB1_2 Depth=1
	s_delay_alu instid0(SALU_CYCLE_1)
	s_or_b32 exec_lo, exec_lo, s34
.LBB1_1775:                             ;   in Loop: Header=BB1_2 Depth=1
	s_delay_alu instid0(SALU_CYCLE_1)
	s_or_b32 exec_lo, exec_lo, s33
.LBB1_1776:                             ;   in Loop: Header=BB1_2 Depth=1
	s_delay_alu instid0(SALU_CYCLE_1)
	s_or_b32 exec_lo, exec_lo, s31
	v_mov_b32_e32 v0, s1
	s_mov_b32 s31, exec_lo
	ds_load_2addr_b64 v[12:15], v0 offset0:51 offset1:52
	ds_load_b64 v[16:17], v0 offset:424
	s_wait_dscnt 0x1
	v_mul_f64_e32 v[0:1], v[4:5], v[14:15]
	s_delay_alu instid0(VALU_DEP_1) | instskip(SKIP_1) | instid1(VALU_DEP_1)
	v_fmac_f64_e32 v[0:1], v[2:3], v[12:13]
	s_wait_dscnt 0x0
	v_fmac_f64_e32 v[0:1], v[6:7], v[16:17]
	s_delay_alu instid0(VALU_DEP_1)
	v_cmpx_ngt_f64_e32 s[28:29], v[0:1]
	s_xor_b32 s31, exec_lo, s31
	s_cbranch_execz .LBB1_1896
; %bb.1777:                             ;   in Loop: Header=BB1_2 Depth=1
	s_mov_b32 s33, exec_lo
	v_cmpx_ngt_f64_e32 s[70:71], v[0:1]
	s_xor_b32 s33, exec_lo, s33
	s_cbranch_execz .LBB1_1893
; %bb.1778:                             ;   in Loop: Header=BB1_2 Depth=1
	s_mov_b32 s34, exec_lo
	;; [unrolled: 5-line block ×30, first 2 shown]
	v_cmpx_gt_f64_e32 s[52:53], v[0:1]
; %bb.1807:                             ;   in Loop: Header=BB1_2 Depth=1
	v_or_b32_e32 v10, 0x400, v10
; %bb.1808:                             ;   in Loop: Header=BB1_2 Depth=1
	s_or_b32 exec_lo, exec_lo, s98
.LBB1_1809:                             ;   in Loop: Header=BB1_2 Depth=1
	s_and_not1_saveexec_b32 s97, s97
; %bb.1810:                             ;   in Loop: Header=BB1_2 Depth=1
	s_delay_alu instid0(VALU_DEP_1)
	v_or_b32_e32 v10, 0x800, v10
; %bb.1811:                             ;   in Loop: Header=BB1_2 Depth=1
	s_or_b32 exec_lo, exec_lo, s97
.LBB1_1812:                             ;   in Loop: Header=BB1_2 Depth=1
	s_and_not1_saveexec_b32 s96, s96
; %bb.1813:                             ;   in Loop: Header=BB1_2 Depth=1
	s_delay_alu instid0(VALU_DEP_1)
	v_or_b32_e32 v10, 0xc00, v10
; %bb.1814:                             ;   in Loop: Header=BB1_2 Depth=1
	s_or_b32 exec_lo, exec_lo, s96
.LBB1_1815:                             ;   in Loop: Header=BB1_2 Depth=1
	s_and_not1_saveexec_b32 s95, s95
; %bb.1816:                             ;   in Loop: Header=BB1_2 Depth=1
	s_delay_alu instid0(VALU_DEP_1)
	v_or_b32_e32 v10, 0x1000, v10
; %bb.1817:                             ;   in Loop: Header=BB1_2 Depth=1
	s_or_b32 exec_lo, exec_lo, s95
.LBB1_1818:                             ;   in Loop: Header=BB1_2 Depth=1
	s_and_not1_saveexec_b32 s94, s94
; %bb.1819:                             ;   in Loop: Header=BB1_2 Depth=1
	s_delay_alu instid0(VALU_DEP_1)
	v_or_b32_e32 v10, 0x1400, v10
; %bb.1820:                             ;   in Loop: Header=BB1_2 Depth=1
	s_or_b32 exec_lo, exec_lo, s94
.LBB1_1821:                             ;   in Loop: Header=BB1_2 Depth=1
	s_and_not1_saveexec_b32 s93, s93
; %bb.1822:                             ;   in Loop: Header=BB1_2 Depth=1
	s_delay_alu instid0(VALU_DEP_1)
	v_or_b32_e32 v10, 0x1800, v10
; %bb.1823:                             ;   in Loop: Header=BB1_2 Depth=1
	s_or_b32 exec_lo, exec_lo, s93
.LBB1_1824:                             ;   in Loop: Header=BB1_2 Depth=1
	s_and_not1_saveexec_b32 s92, s92
; %bb.1825:                             ;   in Loop: Header=BB1_2 Depth=1
	s_delay_alu instid0(VALU_DEP_1)
	v_or_b32_e32 v10, 0x1c00, v10
; %bb.1826:                             ;   in Loop: Header=BB1_2 Depth=1
	s_or_b32 exec_lo, exec_lo, s92
.LBB1_1827:                             ;   in Loop: Header=BB1_2 Depth=1
	s_and_not1_saveexec_b32 s91, s91
; %bb.1828:                             ;   in Loop: Header=BB1_2 Depth=1
	s_delay_alu instid0(VALU_DEP_1)
	v_or_b32_e32 v10, 0x2000, v10
; %bb.1829:                             ;   in Loop: Header=BB1_2 Depth=1
	s_or_b32 exec_lo, exec_lo, s91
.LBB1_1830:                             ;   in Loop: Header=BB1_2 Depth=1
	s_and_not1_saveexec_b32 s90, s90
; %bb.1831:                             ;   in Loop: Header=BB1_2 Depth=1
	s_delay_alu instid0(VALU_DEP_1)
	v_or_b32_e32 v10, 0x2400, v10
; %bb.1832:                             ;   in Loop: Header=BB1_2 Depth=1
	s_or_b32 exec_lo, exec_lo, s90
.LBB1_1833:                             ;   in Loop: Header=BB1_2 Depth=1
	s_and_not1_saveexec_b32 s89, s89
; %bb.1834:                             ;   in Loop: Header=BB1_2 Depth=1
	s_delay_alu instid0(VALU_DEP_1)
	v_or_b32_e32 v10, 0x2800, v10
; %bb.1835:                             ;   in Loop: Header=BB1_2 Depth=1
	s_or_b32 exec_lo, exec_lo, s89
.LBB1_1836:                             ;   in Loop: Header=BB1_2 Depth=1
	s_and_not1_saveexec_b32 s88, s88
; %bb.1837:                             ;   in Loop: Header=BB1_2 Depth=1
	s_delay_alu instid0(VALU_DEP_1)
	v_or_b32_e32 v10, 0x2c00, v10
; %bb.1838:                             ;   in Loop: Header=BB1_2 Depth=1
	s_or_b32 exec_lo, exec_lo, s88
.LBB1_1839:                             ;   in Loop: Header=BB1_2 Depth=1
	s_and_not1_saveexec_b32 s87, s87
; %bb.1840:                             ;   in Loop: Header=BB1_2 Depth=1
	s_delay_alu instid0(VALU_DEP_1)
	v_or_b32_e32 v10, 0x3000, v10
; %bb.1841:                             ;   in Loop: Header=BB1_2 Depth=1
	s_or_b32 exec_lo, exec_lo, s87
.LBB1_1842:                             ;   in Loop: Header=BB1_2 Depth=1
	s_and_not1_saveexec_b32 s86, s86
; %bb.1843:                             ;   in Loop: Header=BB1_2 Depth=1
	s_delay_alu instid0(VALU_DEP_1)
	v_or_b32_e32 v10, 0x3400, v10
; %bb.1844:                             ;   in Loop: Header=BB1_2 Depth=1
	s_or_b32 exec_lo, exec_lo, s86
.LBB1_1845:                             ;   in Loop: Header=BB1_2 Depth=1
	s_and_not1_saveexec_b32 s85, s85
; %bb.1846:                             ;   in Loop: Header=BB1_2 Depth=1
	s_delay_alu instid0(VALU_DEP_1)
	v_or_b32_e32 v10, 0x3800, v10
; %bb.1847:                             ;   in Loop: Header=BB1_2 Depth=1
	s_or_b32 exec_lo, exec_lo, s85
.LBB1_1848:                             ;   in Loop: Header=BB1_2 Depth=1
	s_and_not1_saveexec_b32 s84, s84
; %bb.1849:                             ;   in Loop: Header=BB1_2 Depth=1
	s_delay_alu instid0(VALU_DEP_1)
	v_or_b32_e32 v10, 0x3c00, v10
; %bb.1850:                             ;   in Loop: Header=BB1_2 Depth=1
	s_or_b32 exec_lo, exec_lo, s84
.LBB1_1851:                             ;   in Loop: Header=BB1_2 Depth=1
	s_and_not1_saveexec_b32 s83, s83
; %bb.1852:                             ;   in Loop: Header=BB1_2 Depth=1
	s_delay_alu instid0(VALU_DEP_1)
	v_or_b32_e32 v10, 0x4000, v10
; %bb.1853:                             ;   in Loop: Header=BB1_2 Depth=1
	s_or_b32 exec_lo, exec_lo, s83
.LBB1_1854:                             ;   in Loop: Header=BB1_2 Depth=1
	s_and_not1_saveexec_b32 s82, s82
; %bb.1855:                             ;   in Loop: Header=BB1_2 Depth=1
	s_delay_alu instid0(VALU_DEP_1)
	v_or_b32_e32 v10, 0x4400, v10
; %bb.1856:                             ;   in Loop: Header=BB1_2 Depth=1
	s_or_b32 exec_lo, exec_lo, s82
.LBB1_1857:                             ;   in Loop: Header=BB1_2 Depth=1
	s_and_not1_saveexec_b32 s81, s81
; %bb.1858:                             ;   in Loop: Header=BB1_2 Depth=1
	s_delay_alu instid0(VALU_DEP_1)
	v_or_b32_e32 v10, 0x4800, v10
; %bb.1859:                             ;   in Loop: Header=BB1_2 Depth=1
	s_or_b32 exec_lo, exec_lo, s81
.LBB1_1860:                             ;   in Loop: Header=BB1_2 Depth=1
	s_and_not1_saveexec_b32 s80, s80
; %bb.1861:                             ;   in Loop: Header=BB1_2 Depth=1
	s_delay_alu instid0(VALU_DEP_1)
	v_or_b32_e32 v10, 0x4c00, v10
; %bb.1862:                             ;   in Loop: Header=BB1_2 Depth=1
	s_or_b32 exec_lo, exec_lo, s80
.LBB1_1863:                             ;   in Loop: Header=BB1_2 Depth=1
	s_and_not1_saveexec_b32 s79, s79
; %bb.1864:                             ;   in Loop: Header=BB1_2 Depth=1
	s_delay_alu instid0(VALU_DEP_1)
	v_or_b32_e32 v10, 0x5000, v10
; %bb.1865:                             ;   in Loop: Header=BB1_2 Depth=1
	s_or_b32 exec_lo, exec_lo, s79
.LBB1_1866:                             ;   in Loop: Header=BB1_2 Depth=1
	s_and_not1_saveexec_b32 s78, s78
; %bb.1867:                             ;   in Loop: Header=BB1_2 Depth=1
	s_delay_alu instid0(VALU_DEP_1)
	v_or_b32_e32 v10, 0x5400, v10
; %bb.1868:                             ;   in Loop: Header=BB1_2 Depth=1
	s_or_b32 exec_lo, exec_lo, s78
.LBB1_1869:                             ;   in Loop: Header=BB1_2 Depth=1
	s_and_not1_saveexec_b32 s77, s77
; %bb.1870:                             ;   in Loop: Header=BB1_2 Depth=1
	s_delay_alu instid0(VALU_DEP_1)
	v_or_b32_e32 v10, 0x5800, v10
; %bb.1871:                             ;   in Loop: Header=BB1_2 Depth=1
	s_or_b32 exec_lo, exec_lo, s77
.LBB1_1872:                             ;   in Loop: Header=BB1_2 Depth=1
	s_and_not1_saveexec_b32 s76, s76
; %bb.1873:                             ;   in Loop: Header=BB1_2 Depth=1
	s_delay_alu instid0(VALU_DEP_1)
	v_or_b32_e32 v10, 0x5c00, v10
; %bb.1874:                             ;   in Loop: Header=BB1_2 Depth=1
	s_or_b32 exec_lo, exec_lo, s76
.LBB1_1875:                             ;   in Loop: Header=BB1_2 Depth=1
	s_and_not1_saveexec_b32 s75, s75
; %bb.1876:                             ;   in Loop: Header=BB1_2 Depth=1
	s_delay_alu instid0(VALU_DEP_1)
	v_or_b32_e32 v10, 0x6000, v10
; %bb.1877:                             ;   in Loop: Header=BB1_2 Depth=1
	s_or_b32 exec_lo, exec_lo, s75
.LBB1_1878:                             ;   in Loop: Header=BB1_2 Depth=1
	s_and_not1_saveexec_b32 s74, s74
; %bb.1879:                             ;   in Loop: Header=BB1_2 Depth=1
	s_delay_alu instid0(VALU_DEP_1)
	v_or_b32_e32 v10, 0x6400, v10
; %bb.1880:                             ;   in Loop: Header=BB1_2 Depth=1
	s_or_b32 exec_lo, exec_lo, s74
.LBB1_1881:                             ;   in Loop: Header=BB1_2 Depth=1
	s_and_not1_saveexec_b32 s73, s73
; %bb.1882:                             ;   in Loop: Header=BB1_2 Depth=1
	s_delay_alu instid0(VALU_DEP_1)
	v_or_b32_e32 v10, 0x6800, v10
; %bb.1883:                             ;   in Loop: Header=BB1_2 Depth=1
	s_or_b32 exec_lo, exec_lo, s73
.LBB1_1884:                             ;   in Loop: Header=BB1_2 Depth=1
	s_and_not1_saveexec_b32 s72, s72
; %bb.1885:                             ;   in Loop: Header=BB1_2 Depth=1
	s_delay_alu instid0(VALU_DEP_1)
	v_or_b32_e32 v10, 0x6c00, v10
; %bb.1886:                             ;   in Loop: Header=BB1_2 Depth=1
	s_or_b32 exec_lo, exec_lo, s72
.LBB1_1887:                             ;   in Loop: Header=BB1_2 Depth=1
	s_and_not1_saveexec_b32 s35, s35
; %bb.1888:                             ;   in Loop: Header=BB1_2 Depth=1
	s_delay_alu instid0(VALU_DEP_1)
	v_or_b32_e32 v10, 0x7000, v10
; %bb.1889:                             ;   in Loop: Header=BB1_2 Depth=1
	s_or_b32 exec_lo, exec_lo, s35
.LBB1_1890:                             ;   in Loop: Header=BB1_2 Depth=1
	s_and_not1_saveexec_b32 s34, s34
; %bb.1891:                             ;   in Loop: Header=BB1_2 Depth=1
	s_delay_alu instid0(VALU_DEP_1)
	v_or_b32_e32 v10, 0x7400, v10
; %bb.1892:                             ;   in Loop: Header=BB1_2 Depth=1
	s_or_b32 exec_lo, exec_lo, s34
.LBB1_1893:                             ;   in Loop: Header=BB1_2 Depth=1
	s_and_not1_saveexec_b32 s33, s33
; %bb.1894:                             ;   in Loop: Header=BB1_2 Depth=1
	s_delay_alu instid0(VALU_DEP_1)
	v_or_b32_e32 v10, 0x7800, v10
; %bb.1895:                             ;   in Loop: Header=BB1_2 Depth=1
	s_or_b32 exec_lo, exec_lo, s33
.LBB1_1896:                             ;   in Loop: Header=BB1_2 Depth=1
	s_and_not1_saveexec_b32 s31, s31
; %bb.1897:                             ;   in Loop: Header=BB1_2 Depth=1
	s_delay_alu instid0(VALU_DEP_1)
	v_or_b32_e32 v10, 0x7c00, v10
; %bb.1898:                             ;   in Loop: Header=BB1_2 Depth=1
	s_or_b32 exec_lo, exec_lo, s31
	v_mov_b32_e32 v0, s1
	s_mov_b32 s31, exec_lo
	ds_load_2addr_b64 v[12:15], v0 offset0:54 offset1:55
	ds_load_b64 v[16:17], v0 offset:448
	s_wait_dscnt 0x1
	v_mul_f64_e32 v[0:1], v[4:5], v[14:15]
	s_delay_alu instid0(VALU_DEP_1) | instskip(SKIP_1) | instid1(VALU_DEP_1)
	v_fmac_f64_e32 v[0:1], v[2:3], v[12:13]
	s_wait_dscnt 0x0
	v_fmac_f64_e32 v[0:1], v[6:7], v[16:17]
	s_delay_alu instid0(VALU_DEP_1)
	v_cmpx_ngt_f64_e32 s[28:29], v[0:1]
	s_xor_b32 s31, exec_lo, s31
	s_cbranch_execz .LBB1_2018
; %bb.1899:                             ;   in Loop: Header=BB1_2 Depth=1
	s_mov_b32 s33, exec_lo
	v_cmpx_ngt_f64_e32 s[70:71], v[0:1]
	s_xor_b32 s33, exec_lo, s33
	s_cbranch_execz .LBB1_2015
; %bb.1900:                             ;   in Loop: Header=BB1_2 Depth=1
	s_mov_b32 s34, exec_lo
	;; [unrolled: 5-line block ×30, first 2 shown]
	v_cmpx_gt_f64_e32 s[52:53], v[0:1]
; %bb.1929:                             ;   in Loop: Header=BB1_2 Depth=1
	v_add_nc_u32_e32 v10, 0x40000, v10
; %bb.1930:                             ;   in Loop: Header=BB1_2 Depth=1
	s_or_b32 exec_lo, exec_lo, s98
.LBB1_1931:                             ;   in Loop: Header=BB1_2 Depth=1
	s_and_not1_saveexec_b32 s97, s97
; %bb.1932:                             ;   in Loop: Header=BB1_2 Depth=1
	s_delay_alu instid0(VALU_DEP_1)
	v_add_nc_u32_e32 v10, 0x80000, v10
; %bb.1933:                             ;   in Loop: Header=BB1_2 Depth=1
	s_or_b32 exec_lo, exec_lo, s97
.LBB1_1934:                             ;   in Loop: Header=BB1_2 Depth=1
	s_and_not1_saveexec_b32 s96, s96
; %bb.1935:                             ;   in Loop: Header=BB1_2 Depth=1
	s_delay_alu instid0(VALU_DEP_1)
	v_add_nc_u32_e32 v10, 0xc0000, v10
; %bb.1936:                             ;   in Loop: Header=BB1_2 Depth=1
	s_or_b32 exec_lo, exec_lo, s96
.LBB1_1937:                             ;   in Loop: Header=BB1_2 Depth=1
	s_and_not1_saveexec_b32 s95, s95
; %bb.1938:                             ;   in Loop: Header=BB1_2 Depth=1
	s_delay_alu instid0(VALU_DEP_1)
	v_add_nc_u32_e32 v10, 0x100000, v10
; %bb.1939:                             ;   in Loop: Header=BB1_2 Depth=1
	s_or_b32 exec_lo, exec_lo, s95
.LBB1_1940:                             ;   in Loop: Header=BB1_2 Depth=1
	s_and_not1_saveexec_b32 s94, s94
; %bb.1941:                             ;   in Loop: Header=BB1_2 Depth=1
	s_delay_alu instid0(VALU_DEP_1)
	v_add_nc_u32_e32 v10, 0x140000, v10
; %bb.1942:                             ;   in Loop: Header=BB1_2 Depth=1
	s_or_b32 exec_lo, exec_lo, s94
.LBB1_1943:                             ;   in Loop: Header=BB1_2 Depth=1
	s_and_not1_saveexec_b32 s93, s93
; %bb.1944:                             ;   in Loop: Header=BB1_2 Depth=1
	s_delay_alu instid0(VALU_DEP_1)
	v_add_nc_u32_e32 v10, 0x180000, v10
; %bb.1945:                             ;   in Loop: Header=BB1_2 Depth=1
	s_or_b32 exec_lo, exec_lo, s93
.LBB1_1946:                             ;   in Loop: Header=BB1_2 Depth=1
	s_and_not1_saveexec_b32 s92, s92
; %bb.1947:                             ;   in Loop: Header=BB1_2 Depth=1
	s_delay_alu instid0(VALU_DEP_1)
	v_add_nc_u32_e32 v10, 0x1c0000, v10
; %bb.1948:                             ;   in Loop: Header=BB1_2 Depth=1
	s_or_b32 exec_lo, exec_lo, s92
.LBB1_1949:                             ;   in Loop: Header=BB1_2 Depth=1
	s_and_not1_saveexec_b32 s91, s91
; %bb.1950:                             ;   in Loop: Header=BB1_2 Depth=1
	s_delay_alu instid0(VALU_DEP_1)
	v_add_nc_u32_e32 v10, 0x200000, v10
; %bb.1951:                             ;   in Loop: Header=BB1_2 Depth=1
	s_or_b32 exec_lo, exec_lo, s91
.LBB1_1952:                             ;   in Loop: Header=BB1_2 Depth=1
	s_and_not1_saveexec_b32 s90, s90
; %bb.1953:                             ;   in Loop: Header=BB1_2 Depth=1
	s_delay_alu instid0(VALU_DEP_1)
	v_add_nc_u32_e32 v10, 0x240000, v10
; %bb.1954:                             ;   in Loop: Header=BB1_2 Depth=1
	s_or_b32 exec_lo, exec_lo, s90
.LBB1_1955:                             ;   in Loop: Header=BB1_2 Depth=1
	s_and_not1_saveexec_b32 s89, s89
; %bb.1956:                             ;   in Loop: Header=BB1_2 Depth=1
	s_delay_alu instid0(VALU_DEP_1)
	v_add_nc_u32_e32 v10, 0x280000, v10
; %bb.1957:                             ;   in Loop: Header=BB1_2 Depth=1
	s_or_b32 exec_lo, exec_lo, s89
.LBB1_1958:                             ;   in Loop: Header=BB1_2 Depth=1
	s_and_not1_saveexec_b32 s88, s88
; %bb.1959:                             ;   in Loop: Header=BB1_2 Depth=1
	s_delay_alu instid0(VALU_DEP_1)
	v_add_nc_u32_e32 v10, 0x2c0000, v10
; %bb.1960:                             ;   in Loop: Header=BB1_2 Depth=1
	s_or_b32 exec_lo, exec_lo, s88
.LBB1_1961:                             ;   in Loop: Header=BB1_2 Depth=1
	s_and_not1_saveexec_b32 s87, s87
; %bb.1962:                             ;   in Loop: Header=BB1_2 Depth=1
	s_delay_alu instid0(VALU_DEP_1)
	v_add_nc_u32_e32 v10, 0x300000, v10
; %bb.1963:                             ;   in Loop: Header=BB1_2 Depth=1
	s_or_b32 exec_lo, exec_lo, s87
.LBB1_1964:                             ;   in Loop: Header=BB1_2 Depth=1
	s_and_not1_saveexec_b32 s86, s86
; %bb.1965:                             ;   in Loop: Header=BB1_2 Depth=1
	s_delay_alu instid0(VALU_DEP_1)
	v_add_nc_u32_e32 v10, 0x340000, v10
; %bb.1966:                             ;   in Loop: Header=BB1_2 Depth=1
	s_or_b32 exec_lo, exec_lo, s86
.LBB1_1967:                             ;   in Loop: Header=BB1_2 Depth=1
	s_and_not1_saveexec_b32 s85, s85
; %bb.1968:                             ;   in Loop: Header=BB1_2 Depth=1
	s_delay_alu instid0(VALU_DEP_1)
	v_add_nc_u32_e32 v10, 0x380000, v10
; %bb.1969:                             ;   in Loop: Header=BB1_2 Depth=1
	s_or_b32 exec_lo, exec_lo, s85
.LBB1_1970:                             ;   in Loop: Header=BB1_2 Depth=1
	s_and_not1_saveexec_b32 s84, s84
; %bb.1971:                             ;   in Loop: Header=BB1_2 Depth=1
	s_delay_alu instid0(VALU_DEP_1)
	v_add_nc_u32_e32 v10, 0x3c0000, v10
; %bb.1972:                             ;   in Loop: Header=BB1_2 Depth=1
	s_or_b32 exec_lo, exec_lo, s84
.LBB1_1973:                             ;   in Loop: Header=BB1_2 Depth=1
	s_and_not1_saveexec_b32 s83, s83
; %bb.1974:                             ;   in Loop: Header=BB1_2 Depth=1
	s_delay_alu instid0(VALU_DEP_1)
	v_add_nc_u32_e32 v10, 0x400000, v10
; %bb.1975:                             ;   in Loop: Header=BB1_2 Depth=1
	s_or_b32 exec_lo, exec_lo, s83
.LBB1_1976:                             ;   in Loop: Header=BB1_2 Depth=1
	s_and_not1_saveexec_b32 s82, s82
; %bb.1977:                             ;   in Loop: Header=BB1_2 Depth=1
	s_delay_alu instid0(VALU_DEP_1)
	v_add_nc_u32_e32 v10, 0x440000, v10
; %bb.1978:                             ;   in Loop: Header=BB1_2 Depth=1
	s_or_b32 exec_lo, exec_lo, s82
.LBB1_1979:                             ;   in Loop: Header=BB1_2 Depth=1
	s_and_not1_saveexec_b32 s81, s81
; %bb.1980:                             ;   in Loop: Header=BB1_2 Depth=1
	s_delay_alu instid0(VALU_DEP_1)
	v_add_nc_u32_e32 v10, 0x480000, v10
; %bb.1981:                             ;   in Loop: Header=BB1_2 Depth=1
	s_or_b32 exec_lo, exec_lo, s81
.LBB1_1982:                             ;   in Loop: Header=BB1_2 Depth=1
	s_and_not1_saveexec_b32 s80, s80
; %bb.1983:                             ;   in Loop: Header=BB1_2 Depth=1
	s_delay_alu instid0(VALU_DEP_1)
	v_add_nc_u32_e32 v10, 0x4c0000, v10
; %bb.1984:                             ;   in Loop: Header=BB1_2 Depth=1
	s_or_b32 exec_lo, exec_lo, s80
.LBB1_1985:                             ;   in Loop: Header=BB1_2 Depth=1
	s_and_not1_saveexec_b32 s79, s79
; %bb.1986:                             ;   in Loop: Header=BB1_2 Depth=1
	s_delay_alu instid0(VALU_DEP_1)
	v_add_nc_u32_e32 v10, 0x500000, v10
; %bb.1987:                             ;   in Loop: Header=BB1_2 Depth=1
	s_or_b32 exec_lo, exec_lo, s79
.LBB1_1988:                             ;   in Loop: Header=BB1_2 Depth=1
	s_and_not1_saveexec_b32 s78, s78
; %bb.1989:                             ;   in Loop: Header=BB1_2 Depth=1
	s_delay_alu instid0(VALU_DEP_1)
	v_add_nc_u32_e32 v10, 0x540000, v10
; %bb.1990:                             ;   in Loop: Header=BB1_2 Depth=1
	s_or_b32 exec_lo, exec_lo, s78
.LBB1_1991:                             ;   in Loop: Header=BB1_2 Depth=1
	s_and_not1_saveexec_b32 s77, s77
; %bb.1992:                             ;   in Loop: Header=BB1_2 Depth=1
	s_delay_alu instid0(VALU_DEP_1)
	v_add_nc_u32_e32 v10, 0x580000, v10
; %bb.1993:                             ;   in Loop: Header=BB1_2 Depth=1
	s_or_b32 exec_lo, exec_lo, s77
.LBB1_1994:                             ;   in Loop: Header=BB1_2 Depth=1
	s_and_not1_saveexec_b32 s76, s76
; %bb.1995:                             ;   in Loop: Header=BB1_2 Depth=1
	s_delay_alu instid0(VALU_DEP_1)
	v_add_nc_u32_e32 v10, 0x5c0000, v10
; %bb.1996:                             ;   in Loop: Header=BB1_2 Depth=1
	s_or_b32 exec_lo, exec_lo, s76
.LBB1_1997:                             ;   in Loop: Header=BB1_2 Depth=1
	s_and_not1_saveexec_b32 s75, s75
; %bb.1998:                             ;   in Loop: Header=BB1_2 Depth=1
	s_delay_alu instid0(VALU_DEP_1)
	v_add_nc_u32_e32 v10, 0x600000, v10
; %bb.1999:                             ;   in Loop: Header=BB1_2 Depth=1
	s_or_b32 exec_lo, exec_lo, s75
.LBB1_2000:                             ;   in Loop: Header=BB1_2 Depth=1
	s_and_not1_saveexec_b32 s74, s74
; %bb.2001:                             ;   in Loop: Header=BB1_2 Depth=1
	s_delay_alu instid0(VALU_DEP_1)
	v_add_nc_u32_e32 v10, 0x640000, v10
; %bb.2002:                             ;   in Loop: Header=BB1_2 Depth=1
	s_or_b32 exec_lo, exec_lo, s74
.LBB1_2003:                             ;   in Loop: Header=BB1_2 Depth=1
	s_and_not1_saveexec_b32 s73, s73
; %bb.2004:                             ;   in Loop: Header=BB1_2 Depth=1
	s_delay_alu instid0(VALU_DEP_1)
	v_add_nc_u32_e32 v10, 0x680000, v10
; %bb.2005:                             ;   in Loop: Header=BB1_2 Depth=1
	s_or_b32 exec_lo, exec_lo, s73
.LBB1_2006:                             ;   in Loop: Header=BB1_2 Depth=1
	s_and_not1_saveexec_b32 s72, s72
; %bb.2007:                             ;   in Loop: Header=BB1_2 Depth=1
	s_delay_alu instid0(VALU_DEP_1)
	v_add_nc_u32_e32 v10, 0x6c0000, v10
; %bb.2008:                             ;   in Loop: Header=BB1_2 Depth=1
	s_or_b32 exec_lo, exec_lo, s72
.LBB1_2009:                             ;   in Loop: Header=BB1_2 Depth=1
	s_and_not1_saveexec_b32 s35, s35
; %bb.2010:                             ;   in Loop: Header=BB1_2 Depth=1
	s_delay_alu instid0(VALU_DEP_1)
	v_add_nc_u32_e32 v10, 0x700000, v10
; %bb.2011:                             ;   in Loop: Header=BB1_2 Depth=1
	s_or_b32 exec_lo, exec_lo, s35
.LBB1_2012:                             ;   in Loop: Header=BB1_2 Depth=1
	s_and_not1_saveexec_b32 s34, s34
; %bb.2013:                             ;   in Loop: Header=BB1_2 Depth=1
	s_delay_alu instid0(VALU_DEP_1)
	v_add_nc_u32_e32 v10, 0x740000, v10
; %bb.2014:                             ;   in Loop: Header=BB1_2 Depth=1
	s_or_b32 exec_lo, exec_lo, s34
.LBB1_2015:                             ;   in Loop: Header=BB1_2 Depth=1
	s_and_not1_saveexec_b32 s33, s33
; %bb.2016:                             ;   in Loop: Header=BB1_2 Depth=1
	s_delay_alu instid0(VALU_DEP_1)
	v_add_nc_u32_e32 v10, 0x780000, v10
; %bb.2017:                             ;   in Loop: Header=BB1_2 Depth=1
	s_or_b32 exec_lo, exec_lo, s33
.LBB1_2018:                             ;   in Loop: Header=BB1_2 Depth=1
	s_and_not1_saveexec_b32 s31, s31
; %bb.2019:                             ;   in Loop: Header=BB1_2 Depth=1
	s_delay_alu instid0(VALU_DEP_1)
	v_add_nc_u32_e32 v10, 0x7c0000, v10
; %bb.2020:                             ;   in Loop: Header=BB1_2 Depth=1
	s_or_b32 exec_lo, exec_lo, s31
	v_mov_b32_e32 v0, s1
	s_mov_b32 s31, exec_lo
	ds_load_2addr_b64 v[12:15], v0 offset0:57 offset1:58
	ds_load_b64 v[16:17], v0 offset:472
	s_wait_dscnt 0x1
	v_mul_f64_e32 v[0:1], v[4:5], v[14:15]
	s_delay_alu instid0(VALU_DEP_1) | instskip(SKIP_1) | instid1(VALU_DEP_1)
	v_fmac_f64_e32 v[0:1], v[2:3], v[12:13]
	s_wait_dscnt 0x0
	v_fmac_f64_e32 v[0:1], v[6:7], v[16:17]
	s_delay_alu instid0(VALU_DEP_1)
	v_cmpx_ngt_f64_e32 s[28:29], v[0:1]
	s_xor_b32 s31, exec_lo, s31
	s_cbranch_execz .LBB1_2140
; %bb.2021:                             ;   in Loop: Header=BB1_2 Depth=1
	s_mov_b32 s33, exec_lo
	v_cmpx_ngt_f64_e32 s[70:71], v[0:1]
	s_xor_b32 s33, exec_lo, s33
	s_cbranch_execz .LBB1_2137
; %bb.2022:                             ;   in Loop: Header=BB1_2 Depth=1
	s_mov_b32 s34, exec_lo
	;; [unrolled: 5-line block ×30, first 2 shown]
	v_cmpx_gt_f64_e32 s[52:53], v[0:1]
; %bb.2051:                             ;   in Loop: Header=BB1_2 Depth=1
	v_add_nc_u32_e32 v10, 0x4000000, v10
; %bb.2052:                             ;   in Loop: Header=BB1_2 Depth=1
	s_or_b32 exec_lo, exec_lo, s98
.LBB1_2053:                             ;   in Loop: Header=BB1_2 Depth=1
	s_and_not1_saveexec_b32 s97, s97
; %bb.2054:                             ;   in Loop: Header=BB1_2 Depth=1
	s_delay_alu instid0(VALU_DEP_1)
	v_add_nc_u32_e32 v10, 0x8000000, v10
; %bb.2055:                             ;   in Loop: Header=BB1_2 Depth=1
	s_or_b32 exec_lo, exec_lo, s97
.LBB1_2056:                             ;   in Loop: Header=BB1_2 Depth=1
	s_and_not1_saveexec_b32 s96, s96
; %bb.2057:                             ;   in Loop: Header=BB1_2 Depth=1
	s_delay_alu instid0(VALU_DEP_1)
	v_add_nc_u32_e32 v10, 0xc000000, v10
; %bb.2058:                             ;   in Loop: Header=BB1_2 Depth=1
	s_or_b32 exec_lo, exec_lo, s96
.LBB1_2059:                             ;   in Loop: Header=BB1_2 Depth=1
	s_and_not1_saveexec_b32 s95, s95
; %bb.2060:                             ;   in Loop: Header=BB1_2 Depth=1
	s_delay_alu instid0(VALU_DEP_1)
	v_add_nc_u32_e32 v10, 0x10000000, v10
; %bb.2061:                             ;   in Loop: Header=BB1_2 Depth=1
	s_or_b32 exec_lo, exec_lo, s95
.LBB1_2062:                             ;   in Loop: Header=BB1_2 Depth=1
	s_and_not1_saveexec_b32 s94, s94
; %bb.2063:                             ;   in Loop: Header=BB1_2 Depth=1
	s_delay_alu instid0(VALU_DEP_1)
	v_add_nc_u32_e32 v10, 0x14000000, v10
; %bb.2064:                             ;   in Loop: Header=BB1_2 Depth=1
	s_or_b32 exec_lo, exec_lo, s94
.LBB1_2065:                             ;   in Loop: Header=BB1_2 Depth=1
	s_and_not1_saveexec_b32 s93, s93
; %bb.2066:                             ;   in Loop: Header=BB1_2 Depth=1
	s_delay_alu instid0(VALU_DEP_1)
	v_add_nc_u32_e32 v10, 0x18000000, v10
; %bb.2067:                             ;   in Loop: Header=BB1_2 Depth=1
	s_or_b32 exec_lo, exec_lo, s93
.LBB1_2068:                             ;   in Loop: Header=BB1_2 Depth=1
	s_and_not1_saveexec_b32 s92, s92
; %bb.2069:                             ;   in Loop: Header=BB1_2 Depth=1
	s_delay_alu instid0(VALU_DEP_1)
	v_add_nc_u32_e32 v10, 0x1c000000, v10
; %bb.2070:                             ;   in Loop: Header=BB1_2 Depth=1
	s_or_b32 exec_lo, exec_lo, s92
.LBB1_2071:                             ;   in Loop: Header=BB1_2 Depth=1
	s_and_not1_saveexec_b32 s91, s91
; %bb.2072:                             ;   in Loop: Header=BB1_2 Depth=1
	s_delay_alu instid0(VALU_DEP_1)
	v_add_nc_u32_e32 v10, 0x20000000, v10
; %bb.2073:                             ;   in Loop: Header=BB1_2 Depth=1
	s_or_b32 exec_lo, exec_lo, s91
.LBB1_2074:                             ;   in Loop: Header=BB1_2 Depth=1
	s_and_not1_saveexec_b32 s90, s90
; %bb.2075:                             ;   in Loop: Header=BB1_2 Depth=1
	s_delay_alu instid0(VALU_DEP_1)
	v_add_nc_u32_e32 v10, 0x24000000, v10
; %bb.2076:                             ;   in Loop: Header=BB1_2 Depth=1
	s_or_b32 exec_lo, exec_lo, s90
.LBB1_2077:                             ;   in Loop: Header=BB1_2 Depth=1
	s_and_not1_saveexec_b32 s89, s89
; %bb.2078:                             ;   in Loop: Header=BB1_2 Depth=1
	s_delay_alu instid0(VALU_DEP_1)
	v_add_nc_u32_e32 v10, 0x28000000, v10
; %bb.2079:                             ;   in Loop: Header=BB1_2 Depth=1
	s_or_b32 exec_lo, exec_lo, s89
.LBB1_2080:                             ;   in Loop: Header=BB1_2 Depth=1
	s_and_not1_saveexec_b32 s88, s88
; %bb.2081:                             ;   in Loop: Header=BB1_2 Depth=1
	s_delay_alu instid0(VALU_DEP_1)
	v_add_nc_u32_e32 v10, 0x2c000000, v10
; %bb.2082:                             ;   in Loop: Header=BB1_2 Depth=1
	s_or_b32 exec_lo, exec_lo, s88
.LBB1_2083:                             ;   in Loop: Header=BB1_2 Depth=1
	s_and_not1_saveexec_b32 s87, s87
; %bb.2084:                             ;   in Loop: Header=BB1_2 Depth=1
	s_delay_alu instid0(VALU_DEP_1)
	v_add_nc_u32_e32 v10, 0x30000000, v10
; %bb.2085:                             ;   in Loop: Header=BB1_2 Depth=1
	s_or_b32 exec_lo, exec_lo, s87
.LBB1_2086:                             ;   in Loop: Header=BB1_2 Depth=1
	s_and_not1_saveexec_b32 s86, s86
; %bb.2087:                             ;   in Loop: Header=BB1_2 Depth=1
	s_delay_alu instid0(VALU_DEP_1)
	v_add_nc_u32_e32 v10, 0x34000000, v10
; %bb.2088:                             ;   in Loop: Header=BB1_2 Depth=1
	s_or_b32 exec_lo, exec_lo, s86
.LBB1_2089:                             ;   in Loop: Header=BB1_2 Depth=1
	s_and_not1_saveexec_b32 s85, s85
; %bb.2090:                             ;   in Loop: Header=BB1_2 Depth=1
	s_delay_alu instid0(VALU_DEP_1)
	v_add_nc_u32_e32 v10, 0x38000000, v10
; %bb.2091:                             ;   in Loop: Header=BB1_2 Depth=1
	s_or_b32 exec_lo, exec_lo, s85
.LBB1_2092:                             ;   in Loop: Header=BB1_2 Depth=1
	s_and_not1_saveexec_b32 s84, s84
; %bb.2093:                             ;   in Loop: Header=BB1_2 Depth=1
	s_delay_alu instid0(VALU_DEP_1)
	v_add_nc_u32_e32 v10, 0x3c000000, v10
; %bb.2094:                             ;   in Loop: Header=BB1_2 Depth=1
	s_or_b32 exec_lo, exec_lo, s84
.LBB1_2095:                             ;   in Loop: Header=BB1_2 Depth=1
	s_and_not1_saveexec_b32 s83, s83
; %bb.2096:                             ;   in Loop: Header=BB1_2 Depth=1
	s_delay_alu instid0(VALU_DEP_1)
	v_add_nc_u32_e32 v10, 2.0, v10
; %bb.2097:                             ;   in Loop: Header=BB1_2 Depth=1
	s_or_b32 exec_lo, exec_lo, s83
.LBB1_2098:                             ;   in Loop: Header=BB1_2 Depth=1
	s_and_not1_saveexec_b32 s82, s82
; %bb.2099:                             ;   in Loop: Header=BB1_2 Depth=1
	s_delay_alu instid0(VALU_DEP_1)
	v_add_nc_u32_e32 v10, 0x44000000, v10
; %bb.2100:                             ;   in Loop: Header=BB1_2 Depth=1
	s_or_b32 exec_lo, exec_lo, s82
.LBB1_2101:                             ;   in Loop: Header=BB1_2 Depth=1
	s_and_not1_saveexec_b32 s81, s81
; %bb.2102:                             ;   in Loop: Header=BB1_2 Depth=1
	s_delay_alu instid0(VALU_DEP_1)
	v_add_nc_u32_e32 v10, 0x48000000, v10
; %bb.2103:                             ;   in Loop: Header=BB1_2 Depth=1
	s_or_b32 exec_lo, exec_lo, s81
.LBB1_2104:                             ;   in Loop: Header=BB1_2 Depth=1
	s_and_not1_saveexec_b32 s80, s80
; %bb.2105:                             ;   in Loop: Header=BB1_2 Depth=1
	s_delay_alu instid0(VALU_DEP_1)
	v_add_nc_u32_e32 v10, 0x4c000000, v10
; %bb.2106:                             ;   in Loop: Header=BB1_2 Depth=1
	s_or_b32 exec_lo, exec_lo, s80
.LBB1_2107:                             ;   in Loop: Header=BB1_2 Depth=1
	s_and_not1_saveexec_b32 s79, s79
; %bb.2108:                             ;   in Loop: Header=BB1_2 Depth=1
	s_delay_alu instid0(VALU_DEP_1)
	v_add_nc_u32_e32 v10, 0x50000000, v10
; %bb.2109:                             ;   in Loop: Header=BB1_2 Depth=1
	s_or_b32 exec_lo, exec_lo, s79
.LBB1_2110:                             ;   in Loop: Header=BB1_2 Depth=1
	s_and_not1_saveexec_b32 s78, s78
; %bb.2111:                             ;   in Loop: Header=BB1_2 Depth=1
	s_delay_alu instid0(VALU_DEP_1)
	v_add_nc_u32_e32 v10, 0x54000000, v10
; %bb.2112:                             ;   in Loop: Header=BB1_2 Depth=1
	s_or_b32 exec_lo, exec_lo, s78
.LBB1_2113:                             ;   in Loop: Header=BB1_2 Depth=1
	s_and_not1_saveexec_b32 s77, s77
; %bb.2114:                             ;   in Loop: Header=BB1_2 Depth=1
	s_delay_alu instid0(VALU_DEP_1)
	v_add_nc_u32_e32 v10, 0x58000000, v10
; %bb.2115:                             ;   in Loop: Header=BB1_2 Depth=1
	s_or_b32 exec_lo, exec_lo, s77
.LBB1_2116:                             ;   in Loop: Header=BB1_2 Depth=1
	s_and_not1_saveexec_b32 s76, s76
; %bb.2117:                             ;   in Loop: Header=BB1_2 Depth=1
	s_delay_alu instid0(VALU_DEP_1)
	v_add_nc_u32_e32 v10, 0x5c000000, v10
; %bb.2118:                             ;   in Loop: Header=BB1_2 Depth=1
	s_or_b32 exec_lo, exec_lo, s76
.LBB1_2119:                             ;   in Loop: Header=BB1_2 Depth=1
	s_and_not1_saveexec_b32 s75, s75
; %bb.2120:                             ;   in Loop: Header=BB1_2 Depth=1
	s_delay_alu instid0(VALU_DEP_1)
	v_add_nc_u32_e32 v10, 0x60000000, v10
; %bb.2121:                             ;   in Loop: Header=BB1_2 Depth=1
	s_or_b32 exec_lo, exec_lo, s75
.LBB1_2122:                             ;   in Loop: Header=BB1_2 Depth=1
	s_and_not1_saveexec_b32 s74, s74
; %bb.2123:                             ;   in Loop: Header=BB1_2 Depth=1
	s_delay_alu instid0(VALU_DEP_1)
	v_add_nc_u32_e32 v10, 0x64000000, v10
; %bb.2124:                             ;   in Loop: Header=BB1_2 Depth=1
	s_or_b32 exec_lo, exec_lo, s74
.LBB1_2125:                             ;   in Loop: Header=BB1_2 Depth=1
	s_and_not1_saveexec_b32 s73, s73
; %bb.2126:                             ;   in Loop: Header=BB1_2 Depth=1
	s_delay_alu instid0(VALU_DEP_1)
	v_add_nc_u32_e32 v10, 0x68000000, v10
; %bb.2127:                             ;   in Loop: Header=BB1_2 Depth=1
	s_or_b32 exec_lo, exec_lo, s73
.LBB1_2128:                             ;   in Loop: Header=BB1_2 Depth=1
	s_and_not1_saveexec_b32 s72, s72
; %bb.2129:                             ;   in Loop: Header=BB1_2 Depth=1
	s_delay_alu instid0(VALU_DEP_1)
	v_add_nc_u32_e32 v10, 0x6c000000, v10
; %bb.2130:                             ;   in Loop: Header=BB1_2 Depth=1
	s_or_b32 exec_lo, exec_lo, s72
.LBB1_2131:                             ;   in Loop: Header=BB1_2 Depth=1
	s_and_not1_saveexec_b32 s35, s35
; %bb.2132:                             ;   in Loop: Header=BB1_2 Depth=1
	s_delay_alu instid0(VALU_DEP_1)
	v_add_nc_u32_e32 v10, 0x70000000, v10
; %bb.2133:                             ;   in Loop: Header=BB1_2 Depth=1
	s_or_b32 exec_lo, exec_lo, s35
.LBB1_2134:                             ;   in Loop: Header=BB1_2 Depth=1
	s_and_not1_saveexec_b32 s34, s34
; %bb.2135:                             ;   in Loop: Header=BB1_2 Depth=1
	s_delay_alu instid0(VALU_DEP_1)
	v_add_nc_u32_e32 v10, 0x74000000, v10
; %bb.2136:                             ;   in Loop: Header=BB1_2 Depth=1
	s_or_b32 exec_lo, exec_lo, s34
.LBB1_2137:                             ;   in Loop: Header=BB1_2 Depth=1
	s_and_not1_saveexec_b32 s33, s33
; %bb.2138:                             ;   in Loop: Header=BB1_2 Depth=1
	s_delay_alu instid0(VALU_DEP_1)
	v_add_nc_u32_e32 v10, 0x78000000, v10
; %bb.2139:                             ;   in Loop: Header=BB1_2 Depth=1
	s_or_b32 exec_lo, exec_lo, s33
.LBB1_2140:                             ;   in Loop: Header=BB1_2 Depth=1
	s_and_not1_saveexec_b32 s31, s31
; %bb.2141:                             ;   in Loop: Header=BB1_2 Depth=1
	s_delay_alu instid0(VALU_DEP_1)
	v_add_nc_u32_e32 v10, 0x7c000000, v10
; %bb.2142:                             ;   in Loop: Header=BB1_2 Depth=1
	s_or_b32 exec_lo, exec_lo, s31
	v_dual_mov_b32 v0, s1 :: v_dual_mov_b32 v9, 0x7c
	v_add3_u32 v11, v8, s30, 0x10000
	s_mov_b32 s31, exec_lo
	ds_load_2addr_b64 v[12:15], v0 offset0:60 offset1:61
	ds_load_b64 v[16:17], v0 offset:496
	global_store_b32 v11, v10, s[2:3] scale_offset
	s_wait_dscnt 0x1
	v_mul_f64_e32 v[0:1], v[4:5], v[14:15]
	s_delay_alu instid0(VALU_DEP_1) | instskip(SKIP_1) | instid1(VALU_DEP_1)
	v_fmac_f64_e32 v[0:1], v[2:3], v[12:13]
	s_wait_dscnt 0x0
	v_fmac_f64_e32 v[0:1], v[6:7], v[16:17]
	s_wait_xcnt 0x0
	s_delay_alu instid0(VALU_DEP_1)
	v_cmpx_ngt_f64_e32 s[28:29], v[0:1]
	s_cbranch_execz .LBB1_2204
; %bb.2143:                             ;   in Loop: Header=BB1_2 Depth=1
	v_mov_b32_e32 v9, 0x78
	s_mov_b32 s33, exec_lo
	v_cmpx_ngt_f64_e32 s[70:71], v[0:1]
	s_cbranch_execz .LBB1_2203
; %bb.2144:                             ;   in Loop: Header=BB1_2 Depth=1
	v_mov_b32_e32 v9, 0x74
	s_mov_b32 s34, exec_lo
	;; [unrolled: 5-line block ×30, first 2 shown]
	v_cmpx_gt_f64_e32 s[52:53], v[0:1]
; %bb.2173:                             ;   in Loop: Header=BB1_2 Depth=1
	v_mov_b32_e32 v9, 4
; %bb.2174:                             ;   in Loop: Header=BB1_2 Depth=1
	s_or_b32 exec_lo, exec_lo, s98
.LBB1_2175:                             ;   in Loop: Header=BB1_2 Depth=1
	s_delay_alu instid0(SALU_CYCLE_1)
	s_or_b32 exec_lo, exec_lo, s97
.LBB1_2176:                             ;   in Loop: Header=BB1_2 Depth=1
	s_delay_alu instid0(SALU_CYCLE_1)
	s_or_b32 exec_lo, exec_lo, s96
.LBB1_2177:                             ;   in Loop: Header=BB1_2 Depth=1
	s_delay_alu instid0(SALU_CYCLE_1)
	s_or_b32 exec_lo, exec_lo, s95
.LBB1_2178:                             ;   in Loop: Header=BB1_2 Depth=1
	s_delay_alu instid0(SALU_CYCLE_1)
	s_or_b32 exec_lo, exec_lo, s94
.LBB1_2179:                             ;   in Loop: Header=BB1_2 Depth=1
	s_delay_alu instid0(SALU_CYCLE_1)
	s_or_b32 exec_lo, exec_lo, s93
.LBB1_2180:                             ;   in Loop: Header=BB1_2 Depth=1
	s_delay_alu instid0(SALU_CYCLE_1)
	s_or_b32 exec_lo, exec_lo, s92
.LBB1_2181:                             ;   in Loop: Header=BB1_2 Depth=1
	s_delay_alu instid0(SALU_CYCLE_1)
	s_or_b32 exec_lo, exec_lo, s91
.LBB1_2182:                             ;   in Loop: Header=BB1_2 Depth=1
	s_delay_alu instid0(SALU_CYCLE_1)
	s_or_b32 exec_lo, exec_lo, s90
.LBB1_2183:                             ;   in Loop: Header=BB1_2 Depth=1
	s_delay_alu instid0(SALU_CYCLE_1)
	s_or_b32 exec_lo, exec_lo, s89
.LBB1_2184:                             ;   in Loop: Header=BB1_2 Depth=1
	s_delay_alu instid0(SALU_CYCLE_1)
	s_or_b32 exec_lo, exec_lo, s88
.LBB1_2185:                             ;   in Loop: Header=BB1_2 Depth=1
	s_delay_alu instid0(SALU_CYCLE_1)
	s_or_b32 exec_lo, exec_lo, s87
.LBB1_2186:                             ;   in Loop: Header=BB1_2 Depth=1
	s_delay_alu instid0(SALU_CYCLE_1)
	s_or_b32 exec_lo, exec_lo, s86
.LBB1_2187:                             ;   in Loop: Header=BB1_2 Depth=1
	s_delay_alu instid0(SALU_CYCLE_1)
	s_or_b32 exec_lo, exec_lo, s85
.LBB1_2188:                             ;   in Loop: Header=BB1_2 Depth=1
	s_delay_alu instid0(SALU_CYCLE_1)
	s_or_b32 exec_lo, exec_lo, s84
.LBB1_2189:                             ;   in Loop: Header=BB1_2 Depth=1
	s_delay_alu instid0(SALU_CYCLE_1)
	s_or_b32 exec_lo, exec_lo, s83
.LBB1_2190:                             ;   in Loop: Header=BB1_2 Depth=1
	s_delay_alu instid0(SALU_CYCLE_1)
	s_or_b32 exec_lo, exec_lo, s82
.LBB1_2191:                             ;   in Loop: Header=BB1_2 Depth=1
	s_delay_alu instid0(SALU_CYCLE_1)
	s_or_b32 exec_lo, exec_lo, s81
.LBB1_2192:                             ;   in Loop: Header=BB1_2 Depth=1
	s_delay_alu instid0(SALU_CYCLE_1)
	s_or_b32 exec_lo, exec_lo, s80
.LBB1_2193:                             ;   in Loop: Header=BB1_2 Depth=1
	s_delay_alu instid0(SALU_CYCLE_1)
	s_or_b32 exec_lo, exec_lo, s79
.LBB1_2194:                             ;   in Loop: Header=BB1_2 Depth=1
	s_delay_alu instid0(SALU_CYCLE_1)
	s_or_b32 exec_lo, exec_lo, s78
.LBB1_2195:                             ;   in Loop: Header=BB1_2 Depth=1
	s_delay_alu instid0(SALU_CYCLE_1)
	s_or_b32 exec_lo, exec_lo, s77
.LBB1_2196:                             ;   in Loop: Header=BB1_2 Depth=1
	s_delay_alu instid0(SALU_CYCLE_1)
	s_or_b32 exec_lo, exec_lo, s76
.LBB1_2197:                             ;   in Loop: Header=BB1_2 Depth=1
	s_delay_alu instid0(SALU_CYCLE_1)
	s_or_b32 exec_lo, exec_lo, s75
.LBB1_2198:                             ;   in Loop: Header=BB1_2 Depth=1
	s_delay_alu instid0(SALU_CYCLE_1)
	s_or_b32 exec_lo, exec_lo, s74
.LBB1_2199:                             ;   in Loop: Header=BB1_2 Depth=1
	s_delay_alu instid0(SALU_CYCLE_1)
	s_or_b32 exec_lo, exec_lo, s73
.LBB1_2200:                             ;   in Loop: Header=BB1_2 Depth=1
	s_delay_alu instid0(SALU_CYCLE_1)
	s_or_b32 exec_lo, exec_lo, s72
.LBB1_2201:                             ;   in Loop: Header=BB1_2 Depth=1
	s_delay_alu instid0(SALU_CYCLE_1)
	s_or_b32 exec_lo, exec_lo, s35
.LBB1_2202:                             ;   in Loop: Header=BB1_2 Depth=1
	s_delay_alu instid0(SALU_CYCLE_1)
	s_or_b32 exec_lo, exec_lo, s34
.LBB1_2203:                             ;   in Loop: Header=BB1_2 Depth=1
	s_delay_alu instid0(SALU_CYCLE_1)
	s_or_b32 exec_lo, exec_lo, s33
.LBB1_2204:                             ;   in Loop: Header=BB1_2 Depth=1
	s_delay_alu instid0(SALU_CYCLE_1)
	s_or_b32 exec_lo, exec_lo, s31
	v_mov_b32_e32 v0, s1
	s_mov_b32 s31, exec_lo
	ds_load_2addr_b64 v[10:13], v0 offset0:63 offset1:64
	ds_load_b64 v[14:15], v0 offset:520
	s_wait_dscnt 0x1
	v_mul_f64_e32 v[0:1], v[4:5], v[12:13]
	s_delay_alu instid0(VALU_DEP_1) | instskip(SKIP_1) | instid1(VALU_DEP_1)
	v_fmac_f64_e32 v[0:1], v[2:3], v[10:11]
	s_wait_dscnt 0x0
	v_fmac_f64_e32 v[0:1], v[6:7], v[14:15]
	s_delay_alu instid0(VALU_DEP_1)
	v_cmpx_ngt_f64_e32 s[28:29], v[0:1]
	s_xor_b32 s31, exec_lo, s31
	s_cbranch_execz .LBB1_2324
; %bb.2205:                             ;   in Loop: Header=BB1_2 Depth=1
	s_mov_b32 s33, exec_lo
	v_cmpx_ngt_f64_e32 s[70:71], v[0:1]
	s_xor_b32 s33, exec_lo, s33
	s_cbranch_execz .LBB1_2321
; %bb.2206:                             ;   in Loop: Header=BB1_2 Depth=1
	s_mov_b32 s34, exec_lo
	;; [unrolled: 5-line block ×30, first 2 shown]
	v_cmpx_gt_f64_e32 s[52:53], v[0:1]
; %bb.2235:                             ;   in Loop: Header=BB1_2 Depth=1
	v_or_b32_e32 v9, 0x400, v9
; %bb.2236:                             ;   in Loop: Header=BB1_2 Depth=1
	s_or_b32 exec_lo, exec_lo, s98
.LBB1_2237:                             ;   in Loop: Header=BB1_2 Depth=1
	s_and_not1_saveexec_b32 s97, s97
; %bb.2238:                             ;   in Loop: Header=BB1_2 Depth=1
	s_delay_alu instid0(VALU_DEP_1)
	v_or_b32_e32 v9, 0x800, v9
; %bb.2239:                             ;   in Loop: Header=BB1_2 Depth=1
	s_or_b32 exec_lo, exec_lo, s97
.LBB1_2240:                             ;   in Loop: Header=BB1_2 Depth=1
	s_and_not1_saveexec_b32 s96, s96
; %bb.2241:                             ;   in Loop: Header=BB1_2 Depth=1
	s_delay_alu instid0(VALU_DEP_1)
	v_or_b32_e32 v9, 0xc00, v9
; %bb.2242:                             ;   in Loop: Header=BB1_2 Depth=1
	s_or_b32 exec_lo, exec_lo, s96
.LBB1_2243:                             ;   in Loop: Header=BB1_2 Depth=1
	s_and_not1_saveexec_b32 s95, s95
; %bb.2244:                             ;   in Loop: Header=BB1_2 Depth=1
	s_delay_alu instid0(VALU_DEP_1)
	v_or_b32_e32 v9, 0x1000, v9
; %bb.2245:                             ;   in Loop: Header=BB1_2 Depth=1
	s_or_b32 exec_lo, exec_lo, s95
.LBB1_2246:                             ;   in Loop: Header=BB1_2 Depth=1
	s_and_not1_saveexec_b32 s94, s94
; %bb.2247:                             ;   in Loop: Header=BB1_2 Depth=1
	s_delay_alu instid0(VALU_DEP_1)
	v_or_b32_e32 v9, 0x1400, v9
; %bb.2248:                             ;   in Loop: Header=BB1_2 Depth=1
	s_or_b32 exec_lo, exec_lo, s94
.LBB1_2249:                             ;   in Loop: Header=BB1_2 Depth=1
	s_and_not1_saveexec_b32 s93, s93
; %bb.2250:                             ;   in Loop: Header=BB1_2 Depth=1
	s_delay_alu instid0(VALU_DEP_1)
	v_or_b32_e32 v9, 0x1800, v9
; %bb.2251:                             ;   in Loop: Header=BB1_2 Depth=1
	s_or_b32 exec_lo, exec_lo, s93
.LBB1_2252:                             ;   in Loop: Header=BB1_2 Depth=1
	s_and_not1_saveexec_b32 s92, s92
; %bb.2253:                             ;   in Loop: Header=BB1_2 Depth=1
	s_delay_alu instid0(VALU_DEP_1)
	v_or_b32_e32 v9, 0x1c00, v9
; %bb.2254:                             ;   in Loop: Header=BB1_2 Depth=1
	s_or_b32 exec_lo, exec_lo, s92
.LBB1_2255:                             ;   in Loop: Header=BB1_2 Depth=1
	s_and_not1_saveexec_b32 s91, s91
; %bb.2256:                             ;   in Loop: Header=BB1_2 Depth=1
	s_delay_alu instid0(VALU_DEP_1)
	v_or_b32_e32 v9, 0x2000, v9
; %bb.2257:                             ;   in Loop: Header=BB1_2 Depth=1
	s_or_b32 exec_lo, exec_lo, s91
.LBB1_2258:                             ;   in Loop: Header=BB1_2 Depth=1
	s_and_not1_saveexec_b32 s90, s90
; %bb.2259:                             ;   in Loop: Header=BB1_2 Depth=1
	s_delay_alu instid0(VALU_DEP_1)
	v_or_b32_e32 v9, 0x2400, v9
; %bb.2260:                             ;   in Loop: Header=BB1_2 Depth=1
	s_or_b32 exec_lo, exec_lo, s90
.LBB1_2261:                             ;   in Loop: Header=BB1_2 Depth=1
	s_and_not1_saveexec_b32 s89, s89
; %bb.2262:                             ;   in Loop: Header=BB1_2 Depth=1
	s_delay_alu instid0(VALU_DEP_1)
	v_or_b32_e32 v9, 0x2800, v9
; %bb.2263:                             ;   in Loop: Header=BB1_2 Depth=1
	s_or_b32 exec_lo, exec_lo, s89
.LBB1_2264:                             ;   in Loop: Header=BB1_2 Depth=1
	s_and_not1_saveexec_b32 s88, s88
; %bb.2265:                             ;   in Loop: Header=BB1_2 Depth=1
	s_delay_alu instid0(VALU_DEP_1)
	v_or_b32_e32 v9, 0x2c00, v9
; %bb.2266:                             ;   in Loop: Header=BB1_2 Depth=1
	s_or_b32 exec_lo, exec_lo, s88
.LBB1_2267:                             ;   in Loop: Header=BB1_2 Depth=1
	s_and_not1_saveexec_b32 s87, s87
; %bb.2268:                             ;   in Loop: Header=BB1_2 Depth=1
	s_delay_alu instid0(VALU_DEP_1)
	v_or_b32_e32 v9, 0x3000, v9
; %bb.2269:                             ;   in Loop: Header=BB1_2 Depth=1
	s_or_b32 exec_lo, exec_lo, s87
.LBB1_2270:                             ;   in Loop: Header=BB1_2 Depth=1
	s_and_not1_saveexec_b32 s86, s86
; %bb.2271:                             ;   in Loop: Header=BB1_2 Depth=1
	s_delay_alu instid0(VALU_DEP_1)
	v_or_b32_e32 v9, 0x3400, v9
; %bb.2272:                             ;   in Loop: Header=BB1_2 Depth=1
	s_or_b32 exec_lo, exec_lo, s86
.LBB1_2273:                             ;   in Loop: Header=BB1_2 Depth=1
	s_and_not1_saveexec_b32 s85, s85
; %bb.2274:                             ;   in Loop: Header=BB1_2 Depth=1
	s_delay_alu instid0(VALU_DEP_1)
	v_or_b32_e32 v9, 0x3800, v9
; %bb.2275:                             ;   in Loop: Header=BB1_2 Depth=1
	s_or_b32 exec_lo, exec_lo, s85
.LBB1_2276:                             ;   in Loop: Header=BB1_2 Depth=1
	s_and_not1_saveexec_b32 s84, s84
; %bb.2277:                             ;   in Loop: Header=BB1_2 Depth=1
	s_delay_alu instid0(VALU_DEP_1)
	v_or_b32_e32 v9, 0x3c00, v9
; %bb.2278:                             ;   in Loop: Header=BB1_2 Depth=1
	s_or_b32 exec_lo, exec_lo, s84
.LBB1_2279:                             ;   in Loop: Header=BB1_2 Depth=1
	s_and_not1_saveexec_b32 s83, s83
; %bb.2280:                             ;   in Loop: Header=BB1_2 Depth=1
	s_delay_alu instid0(VALU_DEP_1)
	v_or_b32_e32 v9, 0x4000, v9
; %bb.2281:                             ;   in Loop: Header=BB1_2 Depth=1
	s_or_b32 exec_lo, exec_lo, s83
.LBB1_2282:                             ;   in Loop: Header=BB1_2 Depth=1
	s_and_not1_saveexec_b32 s82, s82
; %bb.2283:                             ;   in Loop: Header=BB1_2 Depth=1
	s_delay_alu instid0(VALU_DEP_1)
	v_or_b32_e32 v9, 0x4400, v9
; %bb.2284:                             ;   in Loop: Header=BB1_2 Depth=1
	s_or_b32 exec_lo, exec_lo, s82
.LBB1_2285:                             ;   in Loop: Header=BB1_2 Depth=1
	s_and_not1_saveexec_b32 s81, s81
; %bb.2286:                             ;   in Loop: Header=BB1_2 Depth=1
	s_delay_alu instid0(VALU_DEP_1)
	v_or_b32_e32 v9, 0x4800, v9
; %bb.2287:                             ;   in Loop: Header=BB1_2 Depth=1
	s_or_b32 exec_lo, exec_lo, s81
.LBB1_2288:                             ;   in Loop: Header=BB1_2 Depth=1
	s_and_not1_saveexec_b32 s80, s80
; %bb.2289:                             ;   in Loop: Header=BB1_2 Depth=1
	s_delay_alu instid0(VALU_DEP_1)
	v_or_b32_e32 v9, 0x4c00, v9
; %bb.2290:                             ;   in Loop: Header=BB1_2 Depth=1
	s_or_b32 exec_lo, exec_lo, s80
.LBB1_2291:                             ;   in Loop: Header=BB1_2 Depth=1
	s_and_not1_saveexec_b32 s79, s79
; %bb.2292:                             ;   in Loop: Header=BB1_2 Depth=1
	s_delay_alu instid0(VALU_DEP_1)
	v_or_b32_e32 v9, 0x5000, v9
; %bb.2293:                             ;   in Loop: Header=BB1_2 Depth=1
	s_or_b32 exec_lo, exec_lo, s79
.LBB1_2294:                             ;   in Loop: Header=BB1_2 Depth=1
	s_and_not1_saveexec_b32 s78, s78
; %bb.2295:                             ;   in Loop: Header=BB1_2 Depth=1
	s_delay_alu instid0(VALU_DEP_1)
	v_or_b32_e32 v9, 0x5400, v9
; %bb.2296:                             ;   in Loop: Header=BB1_2 Depth=1
	s_or_b32 exec_lo, exec_lo, s78
.LBB1_2297:                             ;   in Loop: Header=BB1_2 Depth=1
	s_and_not1_saveexec_b32 s77, s77
; %bb.2298:                             ;   in Loop: Header=BB1_2 Depth=1
	s_delay_alu instid0(VALU_DEP_1)
	v_or_b32_e32 v9, 0x5800, v9
; %bb.2299:                             ;   in Loop: Header=BB1_2 Depth=1
	s_or_b32 exec_lo, exec_lo, s77
.LBB1_2300:                             ;   in Loop: Header=BB1_2 Depth=1
	s_and_not1_saveexec_b32 s76, s76
; %bb.2301:                             ;   in Loop: Header=BB1_2 Depth=1
	s_delay_alu instid0(VALU_DEP_1)
	v_or_b32_e32 v9, 0x5c00, v9
; %bb.2302:                             ;   in Loop: Header=BB1_2 Depth=1
	s_or_b32 exec_lo, exec_lo, s76
.LBB1_2303:                             ;   in Loop: Header=BB1_2 Depth=1
	s_and_not1_saveexec_b32 s75, s75
; %bb.2304:                             ;   in Loop: Header=BB1_2 Depth=1
	s_delay_alu instid0(VALU_DEP_1)
	v_or_b32_e32 v9, 0x6000, v9
; %bb.2305:                             ;   in Loop: Header=BB1_2 Depth=1
	s_or_b32 exec_lo, exec_lo, s75
.LBB1_2306:                             ;   in Loop: Header=BB1_2 Depth=1
	s_and_not1_saveexec_b32 s74, s74
; %bb.2307:                             ;   in Loop: Header=BB1_2 Depth=1
	s_delay_alu instid0(VALU_DEP_1)
	v_or_b32_e32 v9, 0x6400, v9
; %bb.2308:                             ;   in Loop: Header=BB1_2 Depth=1
	s_or_b32 exec_lo, exec_lo, s74
.LBB1_2309:                             ;   in Loop: Header=BB1_2 Depth=1
	s_and_not1_saveexec_b32 s73, s73
; %bb.2310:                             ;   in Loop: Header=BB1_2 Depth=1
	s_delay_alu instid0(VALU_DEP_1)
	v_or_b32_e32 v9, 0x6800, v9
; %bb.2311:                             ;   in Loop: Header=BB1_2 Depth=1
	s_or_b32 exec_lo, exec_lo, s73
.LBB1_2312:                             ;   in Loop: Header=BB1_2 Depth=1
	s_and_not1_saveexec_b32 s72, s72
; %bb.2313:                             ;   in Loop: Header=BB1_2 Depth=1
	s_delay_alu instid0(VALU_DEP_1)
	v_or_b32_e32 v9, 0x6c00, v9
; %bb.2314:                             ;   in Loop: Header=BB1_2 Depth=1
	s_or_b32 exec_lo, exec_lo, s72
.LBB1_2315:                             ;   in Loop: Header=BB1_2 Depth=1
	s_and_not1_saveexec_b32 s35, s35
; %bb.2316:                             ;   in Loop: Header=BB1_2 Depth=1
	s_delay_alu instid0(VALU_DEP_1)
	v_or_b32_e32 v9, 0x7000, v9
; %bb.2317:                             ;   in Loop: Header=BB1_2 Depth=1
	s_or_b32 exec_lo, exec_lo, s35
.LBB1_2318:                             ;   in Loop: Header=BB1_2 Depth=1
	s_and_not1_saveexec_b32 s34, s34
; %bb.2319:                             ;   in Loop: Header=BB1_2 Depth=1
	s_delay_alu instid0(VALU_DEP_1)
	v_or_b32_e32 v9, 0x7400, v9
; %bb.2320:                             ;   in Loop: Header=BB1_2 Depth=1
	s_or_b32 exec_lo, exec_lo, s34
.LBB1_2321:                             ;   in Loop: Header=BB1_2 Depth=1
	s_and_not1_saveexec_b32 s33, s33
; %bb.2322:                             ;   in Loop: Header=BB1_2 Depth=1
	s_delay_alu instid0(VALU_DEP_1)
	v_or_b32_e32 v9, 0x7800, v9
; %bb.2323:                             ;   in Loop: Header=BB1_2 Depth=1
	s_or_b32 exec_lo, exec_lo, s33
.LBB1_2324:                             ;   in Loop: Header=BB1_2 Depth=1
	s_and_not1_saveexec_b32 s31, s31
; %bb.2325:                             ;   in Loop: Header=BB1_2 Depth=1
	s_delay_alu instid0(VALU_DEP_1)
	v_or_b32_e32 v9, 0x7c00, v9
; %bb.2326:                             ;   in Loop: Header=BB1_2 Depth=1
	s_or_b32 exec_lo, exec_lo, s31
	v_mov_b32_e32 v0, s1
	s_mov_b32 s31, exec_lo
	ds_load_2addr_b64 v[10:13], v0 offset0:66 offset1:67
	ds_load_b64 v[14:15], v0 offset:544
	s_wait_dscnt 0x1
	v_mul_f64_e32 v[0:1], v[4:5], v[12:13]
	s_delay_alu instid0(VALU_DEP_1) | instskip(SKIP_1) | instid1(VALU_DEP_1)
	v_fmac_f64_e32 v[0:1], v[2:3], v[10:11]
	s_wait_dscnt 0x0
	v_fmac_f64_e32 v[0:1], v[6:7], v[14:15]
	s_delay_alu instid0(VALU_DEP_1)
	v_cmpx_ngt_f64_e32 s[28:29], v[0:1]
	s_xor_b32 s31, exec_lo, s31
	s_cbranch_execz .LBB1_2446
; %bb.2327:                             ;   in Loop: Header=BB1_2 Depth=1
	s_mov_b32 s33, exec_lo
	v_cmpx_ngt_f64_e32 s[70:71], v[0:1]
	s_xor_b32 s33, exec_lo, s33
	s_cbranch_execz .LBB1_2443
; %bb.2328:                             ;   in Loop: Header=BB1_2 Depth=1
	s_mov_b32 s34, exec_lo
	;; [unrolled: 5-line block ×30, first 2 shown]
	v_cmpx_gt_f64_e32 s[52:53], v[0:1]
; %bb.2357:                             ;   in Loop: Header=BB1_2 Depth=1
	v_add_nc_u32_e32 v9, 0x40000, v9
; %bb.2358:                             ;   in Loop: Header=BB1_2 Depth=1
	s_or_b32 exec_lo, exec_lo, s98
.LBB1_2359:                             ;   in Loop: Header=BB1_2 Depth=1
	s_and_not1_saveexec_b32 s97, s97
; %bb.2360:                             ;   in Loop: Header=BB1_2 Depth=1
	s_delay_alu instid0(VALU_DEP_1)
	v_add_nc_u32_e32 v9, 0x80000, v9
; %bb.2361:                             ;   in Loop: Header=BB1_2 Depth=1
	s_or_b32 exec_lo, exec_lo, s97
.LBB1_2362:                             ;   in Loop: Header=BB1_2 Depth=1
	s_and_not1_saveexec_b32 s96, s96
; %bb.2363:                             ;   in Loop: Header=BB1_2 Depth=1
	s_delay_alu instid0(VALU_DEP_1)
	v_add_nc_u32_e32 v9, 0xc0000, v9
; %bb.2364:                             ;   in Loop: Header=BB1_2 Depth=1
	s_or_b32 exec_lo, exec_lo, s96
.LBB1_2365:                             ;   in Loop: Header=BB1_2 Depth=1
	s_and_not1_saveexec_b32 s95, s95
; %bb.2366:                             ;   in Loop: Header=BB1_2 Depth=1
	s_delay_alu instid0(VALU_DEP_1)
	v_add_nc_u32_e32 v9, 0x100000, v9
; %bb.2367:                             ;   in Loop: Header=BB1_2 Depth=1
	s_or_b32 exec_lo, exec_lo, s95
.LBB1_2368:                             ;   in Loop: Header=BB1_2 Depth=1
	s_and_not1_saveexec_b32 s94, s94
; %bb.2369:                             ;   in Loop: Header=BB1_2 Depth=1
	s_delay_alu instid0(VALU_DEP_1)
	v_add_nc_u32_e32 v9, 0x140000, v9
; %bb.2370:                             ;   in Loop: Header=BB1_2 Depth=1
	s_or_b32 exec_lo, exec_lo, s94
.LBB1_2371:                             ;   in Loop: Header=BB1_2 Depth=1
	s_and_not1_saveexec_b32 s93, s93
; %bb.2372:                             ;   in Loop: Header=BB1_2 Depth=1
	s_delay_alu instid0(VALU_DEP_1)
	v_add_nc_u32_e32 v9, 0x180000, v9
; %bb.2373:                             ;   in Loop: Header=BB1_2 Depth=1
	s_or_b32 exec_lo, exec_lo, s93
.LBB1_2374:                             ;   in Loop: Header=BB1_2 Depth=1
	s_and_not1_saveexec_b32 s92, s92
; %bb.2375:                             ;   in Loop: Header=BB1_2 Depth=1
	s_delay_alu instid0(VALU_DEP_1)
	v_add_nc_u32_e32 v9, 0x1c0000, v9
; %bb.2376:                             ;   in Loop: Header=BB1_2 Depth=1
	s_or_b32 exec_lo, exec_lo, s92
.LBB1_2377:                             ;   in Loop: Header=BB1_2 Depth=1
	s_and_not1_saveexec_b32 s91, s91
; %bb.2378:                             ;   in Loop: Header=BB1_2 Depth=1
	s_delay_alu instid0(VALU_DEP_1)
	v_add_nc_u32_e32 v9, 0x200000, v9
; %bb.2379:                             ;   in Loop: Header=BB1_2 Depth=1
	s_or_b32 exec_lo, exec_lo, s91
.LBB1_2380:                             ;   in Loop: Header=BB1_2 Depth=1
	s_and_not1_saveexec_b32 s90, s90
; %bb.2381:                             ;   in Loop: Header=BB1_2 Depth=1
	s_delay_alu instid0(VALU_DEP_1)
	v_add_nc_u32_e32 v9, 0x240000, v9
; %bb.2382:                             ;   in Loop: Header=BB1_2 Depth=1
	s_or_b32 exec_lo, exec_lo, s90
.LBB1_2383:                             ;   in Loop: Header=BB1_2 Depth=1
	s_and_not1_saveexec_b32 s89, s89
; %bb.2384:                             ;   in Loop: Header=BB1_2 Depth=1
	s_delay_alu instid0(VALU_DEP_1)
	v_add_nc_u32_e32 v9, 0x280000, v9
; %bb.2385:                             ;   in Loop: Header=BB1_2 Depth=1
	s_or_b32 exec_lo, exec_lo, s89
.LBB1_2386:                             ;   in Loop: Header=BB1_2 Depth=1
	s_and_not1_saveexec_b32 s88, s88
; %bb.2387:                             ;   in Loop: Header=BB1_2 Depth=1
	s_delay_alu instid0(VALU_DEP_1)
	v_add_nc_u32_e32 v9, 0x2c0000, v9
; %bb.2388:                             ;   in Loop: Header=BB1_2 Depth=1
	s_or_b32 exec_lo, exec_lo, s88
.LBB1_2389:                             ;   in Loop: Header=BB1_2 Depth=1
	s_and_not1_saveexec_b32 s87, s87
; %bb.2390:                             ;   in Loop: Header=BB1_2 Depth=1
	s_delay_alu instid0(VALU_DEP_1)
	v_add_nc_u32_e32 v9, 0x300000, v9
; %bb.2391:                             ;   in Loop: Header=BB1_2 Depth=1
	s_or_b32 exec_lo, exec_lo, s87
.LBB1_2392:                             ;   in Loop: Header=BB1_2 Depth=1
	s_and_not1_saveexec_b32 s86, s86
; %bb.2393:                             ;   in Loop: Header=BB1_2 Depth=1
	s_delay_alu instid0(VALU_DEP_1)
	v_add_nc_u32_e32 v9, 0x340000, v9
; %bb.2394:                             ;   in Loop: Header=BB1_2 Depth=1
	s_or_b32 exec_lo, exec_lo, s86
.LBB1_2395:                             ;   in Loop: Header=BB1_2 Depth=1
	s_and_not1_saveexec_b32 s85, s85
; %bb.2396:                             ;   in Loop: Header=BB1_2 Depth=1
	s_delay_alu instid0(VALU_DEP_1)
	v_add_nc_u32_e32 v9, 0x380000, v9
; %bb.2397:                             ;   in Loop: Header=BB1_2 Depth=1
	s_or_b32 exec_lo, exec_lo, s85
.LBB1_2398:                             ;   in Loop: Header=BB1_2 Depth=1
	s_and_not1_saveexec_b32 s84, s84
; %bb.2399:                             ;   in Loop: Header=BB1_2 Depth=1
	s_delay_alu instid0(VALU_DEP_1)
	v_add_nc_u32_e32 v9, 0x3c0000, v9
; %bb.2400:                             ;   in Loop: Header=BB1_2 Depth=1
	s_or_b32 exec_lo, exec_lo, s84
.LBB1_2401:                             ;   in Loop: Header=BB1_2 Depth=1
	s_and_not1_saveexec_b32 s83, s83
; %bb.2402:                             ;   in Loop: Header=BB1_2 Depth=1
	s_delay_alu instid0(VALU_DEP_1)
	v_add_nc_u32_e32 v9, 0x400000, v9
; %bb.2403:                             ;   in Loop: Header=BB1_2 Depth=1
	s_or_b32 exec_lo, exec_lo, s83
.LBB1_2404:                             ;   in Loop: Header=BB1_2 Depth=1
	s_and_not1_saveexec_b32 s82, s82
; %bb.2405:                             ;   in Loop: Header=BB1_2 Depth=1
	s_delay_alu instid0(VALU_DEP_1)
	v_add_nc_u32_e32 v9, 0x440000, v9
; %bb.2406:                             ;   in Loop: Header=BB1_2 Depth=1
	s_or_b32 exec_lo, exec_lo, s82
.LBB1_2407:                             ;   in Loop: Header=BB1_2 Depth=1
	s_and_not1_saveexec_b32 s81, s81
; %bb.2408:                             ;   in Loop: Header=BB1_2 Depth=1
	s_delay_alu instid0(VALU_DEP_1)
	v_add_nc_u32_e32 v9, 0x480000, v9
; %bb.2409:                             ;   in Loop: Header=BB1_2 Depth=1
	s_or_b32 exec_lo, exec_lo, s81
.LBB1_2410:                             ;   in Loop: Header=BB1_2 Depth=1
	s_and_not1_saveexec_b32 s80, s80
; %bb.2411:                             ;   in Loop: Header=BB1_2 Depth=1
	s_delay_alu instid0(VALU_DEP_1)
	v_add_nc_u32_e32 v9, 0x4c0000, v9
; %bb.2412:                             ;   in Loop: Header=BB1_2 Depth=1
	s_or_b32 exec_lo, exec_lo, s80
.LBB1_2413:                             ;   in Loop: Header=BB1_2 Depth=1
	s_and_not1_saveexec_b32 s79, s79
; %bb.2414:                             ;   in Loop: Header=BB1_2 Depth=1
	s_delay_alu instid0(VALU_DEP_1)
	v_add_nc_u32_e32 v9, 0x500000, v9
; %bb.2415:                             ;   in Loop: Header=BB1_2 Depth=1
	s_or_b32 exec_lo, exec_lo, s79
.LBB1_2416:                             ;   in Loop: Header=BB1_2 Depth=1
	s_and_not1_saveexec_b32 s78, s78
; %bb.2417:                             ;   in Loop: Header=BB1_2 Depth=1
	s_delay_alu instid0(VALU_DEP_1)
	v_add_nc_u32_e32 v9, 0x540000, v9
; %bb.2418:                             ;   in Loop: Header=BB1_2 Depth=1
	s_or_b32 exec_lo, exec_lo, s78
.LBB1_2419:                             ;   in Loop: Header=BB1_2 Depth=1
	s_and_not1_saveexec_b32 s77, s77
; %bb.2420:                             ;   in Loop: Header=BB1_2 Depth=1
	s_delay_alu instid0(VALU_DEP_1)
	v_add_nc_u32_e32 v9, 0x580000, v9
; %bb.2421:                             ;   in Loop: Header=BB1_2 Depth=1
	s_or_b32 exec_lo, exec_lo, s77
.LBB1_2422:                             ;   in Loop: Header=BB1_2 Depth=1
	s_and_not1_saveexec_b32 s76, s76
; %bb.2423:                             ;   in Loop: Header=BB1_2 Depth=1
	s_delay_alu instid0(VALU_DEP_1)
	v_add_nc_u32_e32 v9, 0x5c0000, v9
; %bb.2424:                             ;   in Loop: Header=BB1_2 Depth=1
	s_or_b32 exec_lo, exec_lo, s76
.LBB1_2425:                             ;   in Loop: Header=BB1_2 Depth=1
	s_and_not1_saveexec_b32 s75, s75
; %bb.2426:                             ;   in Loop: Header=BB1_2 Depth=1
	s_delay_alu instid0(VALU_DEP_1)
	v_add_nc_u32_e32 v9, 0x600000, v9
; %bb.2427:                             ;   in Loop: Header=BB1_2 Depth=1
	s_or_b32 exec_lo, exec_lo, s75
.LBB1_2428:                             ;   in Loop: Header=BB1_2 Depth=1
	s_and_not1_saveexec_b32 s74, s74
; %bb.2429:                             ;   in Loop: Header=BB1_2 Depth=1
	s_delay_alu instid0(VALU_DEP_1)
	v_add_nc_u32_e32 v9, 0x640000, v9
; %bb.2430:                             ;   in Loop: Header=BB1_2 Depth=1
	s_or_b32 exec_lo, exec_lo, s74
.LBB1_2431:                             ;   in Loop: Header=BB1_2 Depth=1
	s_and_not1_saveexec_b32 s73, s73
; %bb.2432:                             ;   in Loop: Header=BB1_2 Depth=1
	s_delay_alu instid0(VALU_DEP_1)
	v_add_nc_u32_e32 v9, 0x680000, v9
; %bb.2433:                             ;   in Loop: Header=BB1_2 Depth=1
	s_or_b32 exec_lo, exec_lo, s73
.LBB1_2434:                             ;   in Loop: Header=BB1_2 Depth=1
	s_and_not1_saveexec_b32 s72, s72
; %bb.2435:                             ;   in Loop: Header=BB1_2 Depth=1
	s_delay_alu instid0(VALU_DEP_1)
	v_add_nc_u32_e32 v9, 0x6c0000, v9
; %bb.2436:                             ;   in Loop: Header=BB1_2 Depth=1
	s_or_b32 exec_lo, exec_lo, s72
.LBB1_2437:                             ;   in Loop: Header=BB1_2 Depth=1
	s_and_not1_saveexec_b32 s35, s35
; %bb.2438:                             ;   in Loop: Header=BB1_2 Depth=1
	s_delay_alu instid0(VALU_DEP_1)
	v_add_nc_u32_e32 v9, 0x700000, v9
; %bb.2439:                             ;   in Loop: Header=BB1_2 Depth=1
	s_or_b32 exec_lo, exec_lo, s35
.LBB1_2440:                             ;   in Loop: Header=BB1_2 Depth=1
	s_and_not1_saveexec_b32 s34, s34
; %bb.2441:                             ;   in Loop: Header=BB1_2 Depth=1
	s_delay_alu instid0(VALU_DEP_1)
	v_add_nc_u32_e32 v9, 0x740000, v9
; %bb.2442:                             ;   in Loop: Header=BB1_2 Depth=1
	s_or_b32 exec_lo, exec_lo, s34
.LBB1_2443:                             ;   in Loop: Header=BB1_2 Depth=1
	s_and_not1_saveexec_b32 s33, s33
; %bb.2444:                             ;   in Loop: Header=BB1_2 Depth=1
	s_delay_alu instid0(VALU_DEP_1)
	v_add_nc_u32_e32 v9, 0x780000, v9
; %bb.2445:                             ;   in Loop: Header=BB1_2 Depth=1
	s_or_b32 exec_lo, exec_lo, s33
.LBB1_2446:                             ;   in Loop: Header=BB1_2 Depth=1
	s_and_not1_saveexec_b32 s31, s31
; %bb.2447:                             ;   in Loop: Header=BB1_2 Depth=1
	s_delay_alu instid0(VALU_DEP_1)
	v_add_nc_u32_e32 v9, 0x7c0000, v9
; %bb.2448:                             ;   in Loop: Header=BB1_2 Depth=1
	s_or_b32 exec_lo, exec_lo, s31
	v_mov_b32_e32 v0, s1
	s_mov_b32 s31, exec_lo
	ds_load_2addr_b64 v[10:13], v0 offset0:69 offset1:70
	ds_load_b64 v[14:15], v0 offset:568
	s_wait_dscnt 0x1
	v_mul_f64_e32 v[0:1], v[4:5], v[12:13]
	s_delay_alu instid0(VALU_DEP_1) | instskip(SKIP_1) | instid1(VALU_DEP_1)
	v_fmac_f64_e32 v[0:1], v[2:3], v[10:11]
	s_wait_dscnt 0x0
	v_fmac_f64_e32 v[0:1], v[6:7], v[14:15]
	s_delay_alu instid0(VALU_DEP_1)
	v_cmpx_ngt_f64_e32 s[28:29], v[0:1]
	s_xor_b32 s31, exec_lo, s31
	s_cbranch_execz .LBB1_2568
; %bb.2449:                             ;   in Loop: Header=BB1_2 Depth=1
	s_mov_b32 s33, exec_lo
	v_cmpx_ngt_f64_e32 s[70:71], v[0:1]
	s_xor_b32 s33, exec_lo, s33
	s_cbranch_execz .LBB1_2565
; %bb.2450:                             ;   in Loop: Header=BB1_2 Depth=1
	s_mov_b32 s34, exec_lo
	;; [unrolled: 5-line block ×30, first 2 shown]
	v_cmpx_gt_f64_e32 s[52:53], v[0:1]
; %bb.2479:                             ;   in Loop: Header=BB1_2 Depth=1
	v_add_nc_u32_e32 v9, 0x4000000, v9
; %bb.2480:                             ;   in Loop: Header=BB1_2 Depth=1
	s_or_b32 exec_lo, exec_lo, s98
.LBB1_2481:                             ;   in Loop: Header=BB1_2 Depth=1
	s_and_not1_saveexec_b32 s97, s97
; %bb.2482:                             ;   in Loop: Header=BB1_2 Depth=1
	s_delay_alu instid0(VALU_DEP_1)
	v_add_nc_u32_e32 v9, 0x8000000, v9
; %bb.2483:                             ;   in Loop: Header=BB1_2 Depth=1
	s_or_b32 exec_lo, exec_lo, s97
.LBB1_2484:                             ;   in Loop: Header=BB1_2 Depth=1
	s_and_not1_saveexec_b32 s96, s96
; %bb.2485:                             ;   in Loop: Header=BB1_2 Depth=1
	s_delay_alu instid0(VALU_DEP_1)
	v_add_nc_u32_e32 v9, 0xc000000, v9
; %bb.2486:                             ;   in Loop: Header=BB1_2 Depth=1
	s_or_b32 exec_lo, exec_lo, s96
.LBB1_2487:                             ;   in Loop: Header=BB1_2 Depth=1
	s_and_not1_saveexec_b32 s95, s95
; %bb.2488:                             ;   in Loop: Header=BB1_2 Depth=1
	s_delay_alu instid0(VALU_DEP_1)
	v_add_nc_u32_e32 v9, 0x10000000, v9
; %bb.2489:                             ;   in Loop: Header=BB1_2 Depth=1
	s_or_b32 exec_lo, exec_lo, s95
.LBB1_2490:                             ;   in Loop: Header=BB1_2 Depth=1
	s_and_not1_saveexec_b32 s94, s94
; %bb.2491:                             ;   in Loop: Header=BB1_2 Depth=1
	s_delay_alu instid0(VALU_DEP_1)
	v_add_nc_u32_e32 v9, 0x14000000, v9
; %bb.2492:                             ;   in Loop: Header=BB1_2 Depth=1
	s_or_b32 exec_lo, exec_lo, s94
.LBB1_2493:                             ;   in Loop: Header=BB1_2 Depth=1
	s_and_not1_saveexec_b32 s93, s93
; %bb.2494:                             ;   in Loop: Header=BB1_2 Depth=1
	s_delay_alu instid0(VALU_DEP_1)
	v_add_nc_u32_e32 v9, 0x18000000, v9
; %bb.2495:                             ;   in Loop: Header=BB1_2 Depth=1
	s_or_b32 exec_lo, exec_lo, s93
.LBB1_2496:                             ;   in Loop: Header=BB1_2 Depth=1
	s_and_not1_saveexec_b32 s92, s92
; %bb.2497:                             ;   in Loop: Header=BB1_2 Depth=1
	s_delay_alu instid0(VALU_DEP_1)
	v_add_nc_u32_e32 v9, 0x1c000000, v9
; %bb.2498:                             ;   in Loop: Header=BB1_2 Depth=1
	s_or_b32 exec_lo, exec_lo, s92
.LBB1_2499:                             ;   in Loop: Header=BB1_2 Depth=1
	s_and_not1_saveexec_b32 s91, s91
; %bb.2500:                             ;   in Loop: Header=BB1_2 Depth=1
	s_delay_alu instid0(VALU_DEP_1)
	v_add_nc_u32_e32 v9, 0x20000000, v9
; %bb.2501:                             ;   in Loop: Header=BB1_2 Depth=1
	s_or_b32 exec_lo, exec_lo, s91
.LBB1_2502:                             ;   in Loop: Header=BB1_2 Depth=1
	s_and_not1_saveexec_b32 s90, s90
; %bb.2503:                             ;   in Loop: Header=BB1_2 Depth=1
	s_delay_alu instid0(VALU_DEP_1)
	v_add_nc_u32_e32 v9, 0x24000000, v9
; %bb.2504:                             ;   in Loop: Header=BB1_2 Depth=1
	s_or_b32 exec_lo, exec_lo, s90
.LBB1_2505:                             ;   in Loop: Header=BB1_2 Depth=1
	s_and_not1_saveexec_b32 s89, s89
; %bb.2506:                             ;   in Loop: Header=BB1_2 Depth=1
	s_delay_alu instid0(VALU_DEP_1)
	v_add_nc_u32_e32 v9, 0x28000000, v9
; %bb.2507:                             ;   in Loop: Header=BB1_2 Depth=1
	s_or_b32 exec_lo, exec_lo, s89
.LBB1_2508:                             ;   in Loop: Header=BB1_2 Depth=1
	s_and_not1_saveexec_b32 s88, s88
; %bb.2509:                             ;   in Loop: Header=BB1_2 Depth=1
	s_delay_alu instid0(VALU_DEP_1)
	v_add_nc_u32_e32 v9, 0x2c000000, v9
; %bb.2510:                             ;   in Loop: Header=BB1_2 Depth=1
	s_or_b32 exec_lo, exec_lo, s88
.LBB1_2511:                             ;   in Loop: Header=BB1_2 Depth=1
	s_and_not1_saveexec_b32 s87, s87
; %bb.2512:                             ;   in Loop: Header=BB1_2 Depth=1
	s_delay_alu instid0(VALU_DEP_1)
	v_add_nc_u32_e32 v9, 0x30000000, v9
; %bb.2513:                             ;   in Loop: Header=BB1_2 Depth=1
	s_or_b32 exec_lo, exec_lo, s87
.LBB1_2514:                             ;   in Loop: Header=BB1_2 Depth=1
	s_and_not1_saveexec_b32 s86, s86
; %bb.2515:                             ;   in Loop: Header=BB1_2 Depth=1
	s_delay_alu instid0(VALU_DEP_1)
	v_add_nc_u32_e32 v9, 0x34000000, v9
; %bb.2516:                             ;   in Loop: Header=BB1_2 Depth=1
	s_or_b32 exec_lo, exec_lo, s86
.LBB1_2517:                             ;   in Loop: Header=BB1_2 Depth=1
	s_and_not1_saveexec_b32 s85, s85
; %bb.2518:                             ;   in Loop: Header=BB1_2 Depth=1
	s_delay_alu instid0(VALU_DEP_1)
	v_add_nc_u32_e32 v9, 0x38000000, v9
; %bb.2519:                             ;   in Loop: Header=BB1_2 Depth=1
	s_or_b32 exec_lo, exec_lo, s85
.LBB1_2520:                             ;   in Loop: Header=BB1_2 Depth=1
	s_and_not1_saveexec_b32 s84, s84
; %bb.2521:                             ;   in Loop: Header=BB1_2 Depth=1
	s_delay_alu instid0(VALU_DEP_1)
	v_add_nc_u32_e32 v9, 0x3c000000, v9
; %bb.2522:                             ;   in Loop: Header=BB1_2 Depth=1
	s_or_b32 exec_lo, exec_lo, s84
.LBB1_2523:                             ;   in Loop: Header=BB1_2 Depth=1
	s_and_not1_saveexec_b32 s83, s83
; %bb.2524:                             ;   in Loop: Header=BB1_2 Depth=1
	s_delay_alu instid0(VALU_DEP_1)
	v_add_nc_u32_e32 v9, 2.0, v9
; %bb.2525:                             ;   in Loop: Header=BB1_2 Depth=1
	s_or_b32 exec_lo, exec_lo, s83
.LBB1_2526:                             ;   in Loop: Header=BB1_2 Depth=1
	s_and_not1_saveexec_b32 s82, s82
; %bb.2527:                             ;   in Loop: Header=BB1_2 Depth=1
	s_delay_alu instid0(VALU_DEP_1)
	v_add_nc_u32_e32 v9, 0x44000000, v9
; %bb.2528:                             ;   in Loop: Header=BB1_2 Depth=1
	s_or_b32 exec_lo, exec_lo, s82
.LBB1_2529:                             ;   in Loop: Header=BB1_2 Depth=1
	s_and_not1_saveexec_b32 s81, s81
; %bb.2530:                             ;   in Loop: Header=BB1_2 Depth=1
	s_delay_alu instid0(VALU_DEP_1)
	v_add_nc_u32_e32 v9, 0x48000000, v9
; %bb.2531:                             ;   in Loop: Header=BB1_2 Depth=1
	s_or_b32 exec_lo, exec_lo, s81
.LBB1_2532:                             ;   in Loop: Header=BB1_2 Depth=1
	s_and_not1_saveexec_b32 s80, s80
; %bb.2533:                             ;   in Loop: Header=BB1_2 Depth=1
	s_delay_alu instid0(VALU_DEP_1)
	v_add_nc_u32_e32 v9, 0x4c000000, v9
; %bb.2534:                             ;   in Loop: Header=BB1_2 Depth=1
	s_or_b32 exec_lo, exec_lo, s80
.LBB1_2535:                             ;   in Loop: Header=BB1_2 Depth=1
	s_and_not1_saveexec_b32 s79, s79
; %bb.2536:                             ;   in Loop: Header=BB1_2 Depth=1
	s_delay_alu instid0(VALU_DEP_1)
	v_add_nc_u32_e32 v9, 0x50000000, v9
; %bb.2537:                             ;   in Loop: Header=BB1_2 Depth=1
	s_or_b32 exec_lo, exec_lo, s79
.LBB1_2538:                             ;   in Loop: Header=BB1_2 Depth=1
	s_and_not1_saveexec_b32 s78, s78
; %bb.2539:                             ;   in Loop: Header=BB1_2 Depth=1
	s_delay_alu instid0(VALU_DEP_1)
	v_add_nc_u32_e32 v9, 0x54000000, v9
; %bb.2540:                             ;   in Loop: Header=BB1_2 Depth=1
	s_or_b32 exec_lo, exec_lo, s78
.LBB1_2541:                             ;   in Loop: Header=BB1_2 Depth=1
	s_and_not1_saveexec_b32 s77, s77
; %bb.2542:                             ;   in Loop: Header=BB1_2 Depth=1
	s_delay_alu instid0(VALU_DEP_1)
	v_add_nc_u32_e32 v9, 0x58000000, v9
; %bb.2543:                             ;   in Loop: Header=BB1_2 Depth=1
	s_or_b32 exec_lo, exec_lo, s77
.LBB1_2544:                             ;   in Loop: Header=BB1_2 Depth=1
	s_and_not1_saveexec_b32 s76, s76
; %bb.2545:                             ;   in Loop: Header=BB1_2 Depth=1
	s_delay_alu instid0(VALU_DEP_1)
	v_add_nc_u32_e32 v9, 0x5c000000, v9
; %bb.2546:                             ;   in Loop: Header=BB1_2 Depth=1
	s_or_b32 exec_lo, exec_lo, s76
.LBB1_2547:                             ;   in Loop: Header=BB1_2 Depth=1
	s_and_not1_saveexec_b32 s75, s75
; %bb.2548:                             ;   in Loop: Header=BB1_2 Depth=1
	s_delay_alu instid0(VALU_DEP_1)
	v_add_nc_u32_e32 v9, 0x60000000, v9
; %bb.2549:                             ;   in Loop: Header=BB1_2 Depth=1
	s_or_b32 exec_lo, exec_lo, s75
.LBB1_2550:                             ;   in Loop: Header=BB1_2 Depth=1
	s_and_not1_saveexec_b32 s74, s74
; %bb.2551:                             ;   in Loop: Header=BB1_2 Depth=1
	s_delay_alu instid0(VALU_DEP_1)
	v_add_nc_u32_e32 v9, 0x64000000, v9
; %bb.2552:                             ;   in Loop: Header=BB1_2 Depth=1
	s_or_b32 exec_lo, exec_lo, s74
.LBB1_2553:                             ;   in Loop: Header=BB1_2 Depth=1
	s_and_not1_saveexec_b32 s73, s73
; %bb.2554:                             ;   in Loop: Header=BB1_2 Depth=1
	s_delay_alu instid0(VALU_DEP_1)
	v_add_nc_u32_e32 v9, 0x68000000, v9
; %bb.2555:                             ;   in Loop: Header=BB1_2 Depth=1
	s_or_b32 exec_lo, exec_lo, s73
.LBB1_2556:                             ;   in Loop: Header=BB1_2 Depth=1
	s_and_not1_saveexec_b32 s72, s72
; %bb.2557:                             ;   in Loop: Header=BB1_2 Depth=1
	s_delay_alu instid0(VALU_DEP_1)
	v_add_nc_u32_e32 v9, 0x6c000000, v9
; %bb.2558:                             ;   in Loop: Header=BB1_2 Depth=1
	s_or_b32 exec_lo, exec_lo, s72
.LBB1_2559:                             ;   in Loop: Header=BB1_2 Depth=1
	s_and_not1_saveexec_b32 s35, s35
; %bb.2560:                             ;   in Loop: Header=BB1_2 Depth=1
	s_delay_alu instid0(VALU_DEP_1)
	v_add_nc_u32_e32 v9, 0x70000000, v9
; %bb.2561:                             ;   in Loop: Header=BB1_2 Depth=1
	s_or_b32 exec_lo, exec_lo, s35
.LBB1_2562:                             ;   in Loop: Header=BB1_2 Depth=1
	s_and_not1_saveexec_b32 s34, s34
; %bb.2563:                             ;   in Loop: Header=BB1_2 Depth=1
	s_delay_alu instid0(VALU_DEP_1)
	v_add_nc_u32_e32 v9, 0x74000000, v9
; %bb.2564:                             ;   in Loop: Header=BB1_2 Depth=1
	s_or_b32 exec_lo, exec_lo, s34
.LBB1_2565:                             ;   in Loop: Header=BB1_2 Depth=1
	s_and_not1_saveexec_b32 s33, s33
; %bb.2566:                             ;   in Loop: Header=BB1_2 Depth=1
	s_delay_alu instid0(VALU_DEP_1)
	v_add_nc_u32_e32 v9, 0x78000000, v9
; %bb.2567:                             ;   in Loop: Header=BB1_2 Depth=1
	s_or_b32 exec_lo, exec_lo, s33
.LBB1_2568:                             ;   in Loop: Header=BB1_2 Depth=1
	s_and_not1_saveexec_b32 s31, s31
; %bb.2569:                             ;   in Loop: Header=BB1_2 Depth=1
	s_delay_alu instid0(VALU_DEP_1)
	v_add_nc_u32_e32 v9, 0x7c000000, v9
; %bb.2570:                             ;   in Loop: Header=BB1_2 Depth=1
	s_or_b32 exec_lo, exec_lo, s31
	v_mov_b32_e32 v0, s1
	s_mov_b32 s31, exec_lo
	ds_load_2addr_b64 v[10:13], v0 offset0:72 offset1:73
	ds_load_b64 v[14:15], v0 offset:592
	s_wait_dscnt 0x1
	v_mul_f64_e32 v[0:1], v[4:5], v[12:13]
	s_delay_alu instid0(VALU_DEP_1)
	v_fmac_f64_e32 v[0:1], v[2:3], v[10:11]
	v_add3_u32 v11, v8, s30, 0x14000
	v_mov_b32_e32 v10, 0x7c
	global_store_b32 v11, v9, s[2:3] scale_offset
	s_wait_dscnt 0x0
	v_fmac_f64_e32 v[0:1], v[6:7], v[14:15]
	s_wait_xcnt 0x0
	s_delay_alu instid0(VALU_DEP_1)
	v_cmpx_ngt_f64_e32 s[28:29], v[0:1]
	s_cbranch_execz .LBB1_2632
; %bb.2571:                             ;   in Loop: Header=BB1_2 Depth=1
	v_mov_b32_e32 v10, 0x78
	s_mov_b32 s33, exec_lo
	v_cmpx_ngt_f64_e32 s[70:71], v[0:1]
	s_cbranch_execz .LBB1_2631
; %bb.2572:                             ;   in Loop: Header=BB1_2 Depth=1
	v_mov_b32_e32 v10, 0x74
	s_mov_b32 s34, exec_lo
	;; [unrolled: 5-line block ×30, first 2 shown]
	v_cmpx_gt_f64_e32 s[52:53], v[0:1]
; %bb.2601:                             ;   in Loop: Header=BB1_2 Depth=1
	v_mov_b32_e32 v10, 4
; %bb.2602:                             ;   in Loop: Header=BB1_2 Depth=1
	s_or_b32 exec_lo, exec_lo, s98
.LBB1_2603:                             ;   in Loop: Header=BB1_2 Depth=1
	s_delay_alu instid0(SALU_CYCLE_1)
	s_or_b32 exec_lo, exec_lo, s97
.LBB1_2604:                             ;   in Loop: Header=BB1_2 Depth=1
	s_delay_alu instid0(SALU_CYCLE_1)
	s_or_b32 exec_lo, exec_lo, s96
.LBB1_2605:                             ;   in Loop: Header=BB1_2 Depth=1
	s_delay_alu instid0(SALU_CYCLE_1)
	s_or_b32 exec_lo, exec_lo, s95
.LBB1_2606:                             ;   in Loop: Header=BB1_2 Depth=1
	s_delay_alu instid0(SALU_CYCLE_1)
	s_or_b32 exec_lo, exec_lo, s94
.LBB1_2607:                             ;   in Loop: Header=BB1_2 Depth=1
	s_delay_alu instid0(SALU_CYCLE_1)
	s_or_b32 exec_lo, exec_lo, s93
.LBB1_2608:                             ;   in Loop: Header=BB1_2 Depth=1
	s_delay_alu instid0(SALU_CYCLE_1)
	s_or_b32 exec_lo, exec_lo, s92
.LBB1_2609:                             ;   in Loop: Header=BB1_2 Depth=1
	s_delay_alu instid0(SALU_CYCLE_1)
	s_or_b32 exec_lo, exec_lo, s91
.LBB1_2610:                             ;   in Loop: Header=BB1_2 Depth=1
	s_delay_alu instid0(SALU_CYCLE_1)
	s_or_b32 exec_lo, exec_lo, s90
.LBB1_2611:                             ;   in Loop: Header=BB1_2 Depth=1
	s_delay_alu instid0(SALU_CYCLE_1)
	s_or_b32 exec_lo, exec_lo, s89
.LBB1_2612:                             ;   in Loop: Header=BB1_2 Depth=1
	s_delay_alu instid0(SALU_CYCLE_1)
	s_or_b32 exec_lo, exec_lo, s88
.LBB1_2613:                             ;   in Loop: Header=BB1_2 Depth=1
	s_delay_alu instid0(SALU_CYCLE_1)
	s_or_b32 exec_lo, exec_lo, s87
.LBB1_2614:                             ;   in Loop: Header=BB1_2 Depth=1
	s_delay_alu instid0(SALU_CYCLE_1)
	s_or_b32 exec_lo, exec_lo, s86
.LBB1_2615:                             ;   in Loop: Header=BB1_2 Depth=1
	s_delay_alu instid0(SALU_CYCLE_1)
	s_or_b32 exec_lo, exec_lo, s85
.LBB1_2616:                             ;   in Loop: Header=BB1_2 Depth=1
	s_delay_alu instid0(SALU_CYCLE_1)
	s_or_b32 exec_lo, exec_lo, s84
.LBB1_2617:                             ;   in Loop: Header=BB1_2 Depth=1
	s_delay_alu instid0(SALU_CYCLE_1)
	s_or_b32 exec_lo, exec_lo, s83
.LBB1_2618:                             ;   in Loop: Header=BB1_2 Depth=1
	s_delay_alu instid0(SALU_CYCLE_1)
	s_or_b32 exec_lo, exec_lo, s82
.LBB1_2619:                             ;   in Loop: Header=BB1_2 Depth=1
	s_delay_alu instid0(SALU_CYCLE_1)
	s_or_b32 exec_lo, exec_lo, s81
.LBB1_2620:                             ;   in Loop: Header=BB1_2 Depth=1
	s_delay_alu instid0(SALU_CYCLE_1)
	s_or_b32 exec_lo, exec_lo, s80
.LBB1_2621:                             ;   in Loop: Header=BB1_2 Depth=1
	s_delay_alu instid0(SALU_CYCLE_1)
	s_or_b32 exec_lo, exec_lo, s79
.LBB1_2622:                             ;   in Loop: Header=BB1_2 Depth=1
	s_delay_alu instid0(SALU_CYCLE_1)
	s_or_b32 exec_lo, exec_lo, s78
.LBB1_2623:                             ;   in Loop: Header=BB1_2 Depth=1
	s_delay_alu instid0(SALU_CYCLE_1)
	s_or_b32 exec_lo, exec_lo, s77
.LBB1_2624:                             ;   in Loop: Header=BB1_2 Depth=1
	s_delay_alu instid0(SALU_CYCLE_1)
	s_or_b32 exec_lo, exec_lo, s76
.LBB1_2625:                             ;   in Loop: Header=BB1_2 Depth=1
	s_delay_alu instid0(SALU_CYCLE_1)
	s_or_b32 exec_lo, exec_lo, s75
.LBB1_2626:                             ;   in Loop: Header=BB1_2 Depth=1
	s_delay_alu instid0(SALU_CYCLE_1)
	s_or_b32 exec_lo, exec_lo, s74
.LBB1_2627:                             ;   in Loop: Header=BB1_2 Depth=1
	s_delay_alu instid0(SALU_CYCLE_1)
	s_or_b32 exec_lo, exec_lo, s73
.LBB1_2628:                             ;   in Loop: Header=BB1_2 Depth=1
	s_delay_alu instid0(SALU_CYCLE_1)
	s_or_b32 exec_lo, exec_lo, s72
.LBB1_2629:                             ;   in Loop: Header=BB1_2 Depth=1
	s_delay_alu instid0(SALU_CYCLE_1)
	s_or_b32 exec_lo, exec_lo, s35
.LBB1_2630:                             ;   in Loop: Header=BB1_2 Depth=1
	s_delay_alu instid0(SALU_CYCLE_1)
	s_or_b32 exec_lo, exec_lo, s34
.LBB1_2631:                             ;   in Loop: Header=BB1_2 Depth=1
	s_delay_alu instid0(SALU_CYCLE_1)
	s_or_b32 exec_lo, exec_lo, s33
.LBB1_2632:                             ;   in Loop: Header=BB1_2 Depth=1
	s_delay_alu instid0(SALU_CYCLE_1)
	s_or_b32 exec_lo, exec_lo, s31
	v_mov_b32_e32 v0, s1
	s_mov_b32 s31, exec_lo
	ds_load_2addr_b64 v[12:15], v0 offset0:75 offset1:76
	ds_load_b64 v[16:17], v0 offset:616
	s_wait_dscnt 0x1
	v_mul_f64_e32 v[0:1], v[4:5], v[14:15]
	s_delay_alu instid0(VALU_DEP_1) | instskip(SKIP_1) | instid1(VALU_DEP_1)
	v_fmac_f64_e32 v[0:1], v[2:3], v[12:13]
	s_wait_dscnt 0x0
	v_fmac_f64_e32 v[0:1], v[6:7], v[16:17]
	s_delay_alu instid0(VALU_DEP_1)
	v_cmpx_ngt_f64_e32 s[28:29], v[0:1]
	s_xor_b32 s31, exec_lo, s31
	s_cbranch_execz .LBB1_2752
; %bb.2633:                             ;   in Loop: Header=BB1_2 Depth=1
	s_mov_b32 s33, exec_lo
	v_cmpx_ngt_f64_e32 s[70:71], v[0:1]
	s_xor_b32 s33, exec_lo, s33
	s_cbranch_execz .LBB1_2749
; %bb.2634:                             ;   in Loop: Header=BB1_2 Depth=1
	s_mov_b32 s34, exec_lo
	v_cmpx_ngt_f64_e32 s[68:69], v[0:1]
	s_xor_b32 s34, exec_lo, s34
	s_cbranch_execz .LBB1_2746
; %bb.2635:                             ;   in Loop: Header=BB1_2 Depth=1
	s_mov_b32 s35, exec_lo
	v_cmpx_ngt_f64_e32 s[26:27], v[0:1]
	s_xor_b32 s35, exec_lo, s35
	s_cbranch_execz .LBB1_2743
; %bb.2636:                             ;   in Loop: Header=BB1_2 Depth=1
	s_mov_b32 s72, exec_lo
	v_cmpx_ngt_f64_e32 s[24:25], v[0:1]
	s_xor_b32 s72, exec_lo, s72
	s_cbranch_execz .LBB1_2740
; %bb.2637:                             ;   in Loop: Header=BB1_2 Depth=1
	s_mov_b32 s73, exec_lo
	v_cmpx_ngt_f64_e32 s[22:23], v[0:1]
	s_xor_b32 s73, exec_lo, s73
	s_cbranch_execz .LBB1_2737
; %bb.2638:                             ;   in Loop: Header=BB1_2 Depth=1
	s_mov_b32 s74, exec_lo
	v_cmpx_ngt_f64_e32 s[20:21], v[0:1]
	s_xor_b32 s74, exec_lo, s74
	s_cbranch_execz .LBB1_2734
; %bb.2639:                             ;   in Loop: Header=BB1_2 Depth=1
	s_mov_b32 s75, exec_lo
	v_cmpx_ngt_f64_e32 s[18:19], v[0:1]
	s_xor_b32 s75, exec_lo, s75
	s_cbranch_execz .LBB1_2731
; %bb.2640:                             ;   in Loop: Header=BB1_2 Depth=1
	s_mov_b32 s76, exec_lo
	v_cmpx_ngt_f64_e32 s[16:17], v[0:1]
	s_xor_b32 s76, exec_lo, s76
	s_cbranch_execz .LBB1_2728
; %bb.2641:                             ;   in Loop: Header=BB1_2 Depth=1
	s_mov_b32 s77, exec_lo
	v_cmpx_ngt_f64_e32 s[14:15], v[0:1]
	s_xor_b32 s77, exec_lo, s77
	s_cbranch_execz .LBB1_2725
; %bb.2642:                             ;   in Loop: Header=BB1_2 Depth=1
	s_mov_b32 s78, exec_lo
	v_cmpx_ngt_f64_e32 s[12:13], v[0:1]
	s_xor_b32 s78, exec_lo, s78
	s_cbranch_execz .LBB1_2722
; %bb.2643:                             ;   in Loop: Header=BB1_2 Depth=1
	s_mov_b32 s79, exec_lo
	v_cmpx_ngt_f64_e32 s[10:11], v[0:1]
	s_xor_b32 s79, exec_lo, s79
	s_cbranch_execz .LBB1_2719
; %bb.2644:                             ;   in Loop: Header=BB1_2 Depth=1
	s_mov_b32 s80, exec_lo
	v_cmpx_ngt_f64_e32 s[8:9], v[0:1]
	s_xor_b32 s80, exec_lo, s80
	s_cbranch_execz .LBB1_2716
; %bb.2645:                             ;   in Loop: Header=BB1_2 Depth=1
	s_mov_b32 s81, exec_lo
	v_cmpx_ngt_f64_e32 s[6:7], v[0:1]
	s_xor_b32 s81, exec_lo, s81
	s_cbranch_execz .LBB1_2713
; %bb.2646:                             ;   in Loop: Header=BB1_2 Depth=1
	s_mov_b32 s82, exec_lo
	v_cmpx_ngt_f64_e32 s[4:5], v[0:1]
	s_xor_b32 s82, exec_lo, s82
	s_cbranch_execz .LBB1_2710
; %bb.2647:                             ;   in Loop: Header=BB1_2 Depth=1
	s_mov_b32 s83, exec_lo
	v_cmpx_ngt_f64_e32 s[50:51], v[0:1]
	s_xor_b32 s83, exec_lo, s83
	s_cbranch_execz .LBB1_2707
; %bb.2648:                             ;   in Loop: Header=BB1_2 Depth=1
	s_mov_b32 s84, exec_lo
	v_cmpx_ngt_f64_e32 s[48:49], v[0:1]
	s_xor_b32 s84, exec_lo, s84
	s_cbranch_execz .LBB1_2704
; %bb.2649:                             ;   in Loop: Header=BB1_2 Depth=1
	s_mov_b32 s85, exec_lo
	v_cmpx_ngt_f64_e32 s[46:47], v[0:1]
	s_xor_b32 s85, exec_lo, s85
	s_cbranch_execz .LBB1_2701
; %bb.2650:                             ;   in Loop: Header=BB1_2 Depth=1
	s_mov_b32 s86, exec_lo
	v_cmpx_ngt_f64_e32 s[44:45], v[0:1]
	s_xor_b32 s86, exec_lo, s86
	s_cbranch_execz .LBB1_2698
; %bb.2651:                             ;   in Loop: Header=BB1_2 Depth=1
	s_mov_b32 s87, exec_lo
	v_cmpx_ngt_f64_e32 s[42:43], v[0:1]
	s_xor_b32 s87, exec_lo, s87
	s_cbranch_execz .LBB1_2695
; %bb.2652:                             ;   in Loop: Header=BB1_2 Depth=1
	s_mov_b32 s88, exec_lo
	v_cmpx_ngt_f64_e32 s[40:41], v[0:1]
	s_xor_b32 s88, exec_lo, s88
	s_cbranch_execz .LBB1_2692
; %bb.2653:                             ;   in Loop: Header=BB1_2 Depth=1
	s_mov_b32 s89, exec_lo
	v_cmpx_ngt_f64_e32 s[38:39], v[0:1]
	s_xor_b32 s89, exec_lo, s89
	s_cbranch_execz .LBB1_2689
; %bb.2654:                             ;   in Loop: Header=BB1_2 Depth=1
	s_mov_b32 s90, exec_lo
	v_cmpx_ngt_f64_e32 s[36:37], v[0:1]
	s_xor_b32 s90, exec_lo, s90
	s_cbranch_execz .LBB1_2686
; %bb.2655:                             ;   in Loop: Header=BB1_2 Depth=1
	s_mov_b32 s91, exec_lo
	v_cmpx_ngt_f64_e32 s[66:67], v[0:1]
	s_xor_b32 s91, exec_lo, s91
	s_cbranch_execz .LBB1_2683
; %bb.2656:                             ;   in Loop: Header=BB1_2 Depth=1
	s_mov_b32 s92, exec_lo
	v_cmpx_ngt_f64_e32 s[64:65], v[0:1]
	s_xor_b32 s92, exec_lo, s92
	s_cbranch_execz .LBB1_2680
; %bb.2657:                             ;   in Loop: Header=BB1_2 Depth=1
	s_mov_b32 s93, exec_lo
	v_cmpx_ngt_f64_e32 s[62:63], v[0:1]
	s_xor_b32 s93, exec_lo, s93
	s_cbranch_execz .LBB1_2677
; %bb.2658:                             ;   in Loop: Header=BB1_2 Depth=1
	s_mov_b32 s94, exec_lo
	v_cmpx_ngt_f64_e32 s[60:61], v[0:1]
	s_xor_b32 s94, exec_lo, s94
	s_cbranch_execz .LBB1_2674
; %bb.2659:                             ;   in Loop: Header=BB1_2 Depth=1
	s_mov_b32 s95, exec_lo
	v_cmpx_ngt_f64_e32 s[58:59], v[0:1]
	s_xor_b32 s95, exec_lo, s95
	s_cbranch_execz .LBB1_2671
; %bb.2660:                             ;   in Loop: Header=BB1_2 Depth=1
	s_mov_b32 s96, exec_lo
	v_cmpx_ngt_f64_e32 s[56:57], v[0:1]
	s_xor_b32 s96, exec_lo, s96
	s_cbranch_execz .LBB1_2668
; %bb.2661:                             ;   in Loop: Header=BB1_2 Depth=1
	s_mov_b32 s97, exec_lo
	v_cmpx_ngt_f64_e32 s[54:55], v[0:1]
	s_xor_b32 s97, exec_lo, s97
	s_cbranch_execz .LBB1_2665
; %bb.2662:                             ;   in Loop: Header=BB1_2 Depth=1
	s_mov_b32 s98, exec_lo
	v_cmpx_gt_f64_e32 s[52:53], v[0:1]
; %bb.2663:                             ;   in Loop: Header=BB1_2 Depth=1
	v_or_b32_e32 v10, 0x400, v10
; %bb.2664:                             ;   in Loop: Header=BB1_2 Depth=1
	s_or_b32 exec_lo, exec_lo, s98
.LBB1_2665:                             ;   in Loop: Header=BB1_2 Depth=1
	s_and_not1_saveexec_b32 s97, s97
; %bb.2666:                             ;   in Loop: Header=BB1_2 Depth=1
	s_delay_alu instid0(VALU_DEP_1)
	v_or_b32_e32 v10, 0x800, v10
; %bb.2667:                             ;   in Loop: Header=BB1_2 Depth=1
	s_or_b32 exec_lo, exec_lo, s97
.LBB1_2668:                             ;   in Loop: Header=BB1_2 Depth=1
	s_and_not1_saveexec_b32 s96, s96
; %bb.2669:                             ;   in Loop: Header=BB1_2 Depth=1
	s_delay_alu instid0(VALU_DEP_1)
	v_or_b32_e32 v10, 0xc00, v10
; %bb.2670:                             ;   in Loop: Header=BB1_2 Depth=1
	s_or_b32 exec_lo, exec_lo, s96
.LBB1_2671:                             ;   in Loop: Header=BB1_2 Depth=1
	s_and_not1_saveexec_b32 s95, s95
; %bb.2672:                             ;   in Loop: Header=BB1_2 Depth=1
	s_delay_alu instid0(VALU_DEP_1)
	v_or_b32_e32 v10, 0x1000, v10
; %bb.2673:                             ;   in Loop: Header=BB1_2 Depth=1
	s_or_b32 exec_lo, exec_lo, s95
.LBB1_2674:                             ;   in Loop: Header=BB1_2 Depth=1
	s_and_not1_saveexec_b32 s94, s94
; %bb.2675:                             ;   in Loop: Header=BB1_2 Depth=1
	s_delay_alu instid0(VALU_DEP_1)
	v_or_b32_e32 v10, 0x1400, v10
; %bb.2676:                             ;   in Loop: Header=BB1_2 Depth=1
	s_or_b32 exec_lo, exec_lo, s94
.LBB1_2677:                             ;   in Loop: Header=BB1_2 Depth=1
	s_and_not1_saveexec_b32 s93, s93
; %bb.2678:                             ;   in Loop: Header=BB1_2 Depth=1
	s_delay_alu instid0(VALU_DEP_1)
	v_or_b32_e32 v10, 0x1800, v10
; %bb.2679:                             ;   in Loop: Header=BB1_2 Depth=1
	s_or_b32 exec_lo, exec_lo, s93
.LBB1_2680:                             ;   in Loop: Header=BB1_2 Depth=1
	s_and_not1_saveexec_b32 s92, s92
; %bb.2681:                             ;   in Loop: Header=BB1_2 Depth=1
	s_delay_alu instid0(VALU_DEP_1)
	v_or_b32_e32 v10, 0x1c00, v10
; %bb.2682:                             ;   in Loop: Header=BB1_2 Depth=1
	s_or_b32 exec_lo, exec_lo, s92
.LBB1_2683:                             ;   in Loop: Header=BB1_2 Depth=1
	s_and_not1_saveexec_b32 s91, s91
; %bb.2684:                             ;   in Loop: Header=BB1_2 Depth=1
	s_delay_alu instid0(VALU_DEP_1)
	v_or_b32_e32 v10, 0x2000, v10
; %bb.2685:                             ;   in Loop: Header=BB1_2 Depth=1
	s_or_b32 exec_lo, exec_lo, s91
.LBB1_2686:                             ;   in Loop: Header=BB1_2 Depth=1
	s_and_not1_saveexec_b32 s90, s90
; %bb.2687:                             ;   in Loop: Header=BB1_2 Depth=1
	s_delay_alu instid0(VALU_DEP_1)
	v_or_b32_e32 v10, 0x2400, v10
; %bb.2688:                             ;   in Loop: Header=BB1_2 Depth=1
	s_or_b32 exec_lo, exec_lo, s90
.LBB1_2689:                             ;   in Loop: Header=BB1_2 Depth=1
	s_and_not1_saveexec_b32 s89, s89
; %bb.2690:                             ;   in Loop: Header=BB1_2 Depth=1
	s_delay_alu instid0(VALU_DEP_1)
	v_or_b32_e32 v10, 0x2800, v10
; %bb.2691:                             ;   in Loop: Header=BB1_2 Depth=1
	s_or_b32 exec_lo, exec_lo, s89
.LBB1_2692:                             ;   in Loop: Header=BB1_2 Depth=1
	s_and_not1_saveexec_b32 s88, s88
; %bb.2693:                             ;   in Loop: Header=BB1_2 Depth=1
	s_delay_alu instid0(VALU_DEP_1)
	v_or_b32_e32 v10, 0x2c00, v10
; %bb.2694:                             ;   in Loop: Header=BB1_2 Depth=1
	s_or_b32 exec_lo, exec_lo, s88
.LBB1_2695:                             ;   in Loop: Header=BB1_2 Depth=1
	s_and_not1_saveexec_b32 s87, s87
; %bb.2696:                             ;   in Loop: Header=BB1_2 Depth=1
	s_delay_alu instid0(VALU_DEP_1)
	v_or_b32_e32 v10, 0x3000, v10
; %bb.2697:                             ;   in Loop: Header=BB1_2 Depth=1
	s_or_b32 exec_lo, exec_lo, s87
.LBB1_2698:                             ;   in Loop: Header=BB1_2 Depth=1
	s_and_not1_saveexec_b32 s86, s86
; %bb.2699:                             ;   in Loop: Header=BB1_2 Depth=1
	s_delay_alu instid0(VALU_DEP_1)
	v_or_b32_e32 v10, 0x3400, v10
; %bb.2700:                             ;   in Loop: Header=BB1_2 Depth=1
	s_or_b32 exec_lo, exec_lo, s86
.LBB1_2701:                             ;   in Loop: Header=BB1_2 Depth=1
	s_and_not1_saveexec_b32 s85, s85
; %bb.2702:                             ;   in Loop: Header=BB1_2 Depth=1
	s_delay_alu instid0(VALU_DEP_1)
	v_or_b32_e32 v10, 0x3800, v10
; %bb.2703:                             ;   in Loop: Header=BB1_2 Depth=1
	s_or_b32 exec_lo, exec_lo, s85
.LBB1_2704:                             ;   in Loop: Header=BB1_2 Depth=1
	s_and_not1_saveexec_b32 s84, s84
; %bb.2705:                             ;   in Loop: Header=BB1_2 Depth=1
	s_delay_alu instid0(VALU_DEP_1)
	v_or_b32_e32 v10, 0x3c00, v10
; %bb.2706:                             ;   in Loop: Header=BB1_2 Depth=1
	s_or_b32 exec_lo, exec_lo, s84
.LBB1_2707:                             ;   in Loop: Header=BB1_2 Depth=1
	s_and_not1_saveexec_b32 s83, s83
; %bb.2708:                             ;   in Loop: Header=BB1_2 Depth=1
	s_delay_alu instid0(VALU_DEP_1)
	v_or_b32_e32 v10, 0x4000, v10
; %bb.2709:                             ;   in Loop: Header=BB1_2 Depth=1
	s_or_b32 exec_lo, exec_lo, s83
.LBB1_2710:                             ;   in Loop: Header=BB1_2 Depth=1
	s_and_not1_saveexec_b32 s82, s82
; %bb.2711:                             ;   in Loop: Header=BB1_2 Depth=1
	s_delay_alu instid0(VALU_DEP_1)
	v_or_b32_e32 v10, 0x4400, v10
; %bb.2712:                             ;   in Loop: Header=BB1_2 Depth=1
	s_or_b32 exec_lo, exec_lo, s82
.LBB1_2713:                             ;   in Loop: Header=BB1_2 Depth=1
	s_and_not1_saveexec_b32 s81, s81
; %bb.2714:                             ;   in Loop: Header=BB1_2 Depth=1
	s_delay_alu instid0(VALU_DEP_1)
	v_or_b32_e32 v10, 0x4800, v10
; %bb.2715:                             ;   in Loop: Header=BB1_2 Depth=1
	s_or_b32 exec_lo, exec_lo, s81
.LBB1_2716:                             ;   in Loop: Header=BB1_2 Depth=1
	s_and_not1_saveexec_b32 s80, s80
; %bb.2717:                             ;   in Loop: Header=BB1_2 Depth=1
	s_delay_alu instid0(VALU_DEP_1)
	v_or_b32_e32 v10, 0x4c00, v10
; %bb.2718:                             ;   in Loop: Header=BB1_2 Depth=1
	s_or_b32 exec_lo, exec_lo, s80
.LBB1_2719:                             ;   in Loop: Header=BB1_2 Depth=1
	s_and_not1_saveexec_b32 s79, s79
; %bb.2720:                             ;   in Loop: Header=BB1_2 Depth=1
	s_delay_alu instid0(VALU_DEP_1)
	v_or_b32_e32 v10, 0x5000, v10
; %bb.2721:                             ;   in Loop: Header=BB1_2 Depth=1
	s_or_b32 exec_lo, exec_lo, s79
.LBB1_2722:                             ;   in Loop: Header=BB1_2 Depth=1
	s_and_not1_saveexec_b32 s78, s78
; %bb.2723:                             ;   in Loop: Header=BB1_2 Depth=1
	s_delay_alu instid0(VALU_DEP_1)
	v_or_b32_e32 v10, 0x5400, v10
; %bb.2724:                             ;   in Loop: Header=BB1_2 Depth=1
	s_or_b32 exec_lo, exec_lo, s78
.LBB1_2725:                             ;   in Loop: Header=BB1_2 Depth=1
	s_and_not1_saveexec_b32 s77, s77
; %bb.2726:                             ;   in Loop: Header=BB1_2 Depth=1
	s_delay_alu instid0(VALU_DEP_1)
	v_or_b32_e32 v10, 0x5800, v10
; %bb.2727:                             ;   in Loop: Header=BB1_2 Depth=1
	s_or_b32 exec_lo, exec_lo, s77
.LBB1_2728:                             ;   in Loop: Header=BB1_2 Depth=1
	s_and_not1_saveexec_b32 s76, s76
; %bb.2729:                             ;   in Loop: Header=BB1_2 Depth=1
	s_delay_alu instid0(VALU_DEP_1)
	v_or_b32_e32 v10, 0x5c00, v10
; %bb.2730:                             ;   in Loop: Header=BB1_2 Depth=1
	s_or_b32 exec_lo, exec_lo, s76
.LBB1_2731:                             ;   in Loop: Header=BB1_2 Depth=1
	s_and_not1_saveexec_b32 s75, s75
; %bb.2732:                             ;   in Loop: Header=BB1_2 Depth=1
	s_delay_alu instid0(VALU_DEP_1)
	v_or_b32_e32 v10, 0x6000, v10
; %bb.2733:                             ;   in Loop: Header=BB1_2 Depth=1
	s_or_b32 exec_lo, exec_lo, s75
.LBB1_2734:                             ;   in Loop: Header=BB1_2 Depth=1
	s_and_not1_saveexec_b32 s74, s74
; %bb.2735:                             ;   in Loop: Header=BB1_2 Depth=1
	s_delay_alu instid0(VALU_DEP_1)
	v_or_b32_e32 v10, 0x6400, v10
; %bb.2736:                             ;   in Loop: Header=BB1_2 Depth=1
	s_or_b32 exec_lo, exec_lo, s74
.LBB1_2737:                             ;   in Loop: Header=BB1_2 Depth=1
	s_and_not1_saveexec_b32 s73, s73
; %bb.2738:                             ;   in Loop: Header=BB1_2 Depth=1
	s_delay_alu instid0(VALU_DEP_1)
	v_or_b32_e32 v10, 0x6800, v10
; %bb.2739:                             ;   in Loop: Header=BB1_2 Depth=1
	s_or_b32 exec_lo, exec_lo, s73
.LBB1_2740:                             ;   in Loop: Header=BB1_2 Depth=1
	s_and_not1_saveexec_b32 s72, s72
; %bb.2741:                             ;   in Loop: Header=BB1_2 Depth=1
	s_delay_alu instid0(VALU_DEP_1)
	v_or_b32_e32 v10, 0x6c00, v10
; %bb.2742:                             ;   in Loop: Header=BB1_2 Depth=1
	s_or_b32 exec_lo, exec_lo, s72
.LBB1_2743:                             ;   in Loop: Header=BB1_2 Depth=1
	s_and_not1_saveexec_b32 s35, s35
; %bb.2744:                             ;   in Loop: Header=BB1_2 Depth=1
	s_delay_alu instid0(VALU_DEP_1)
	v_or_b32_e32 v10, 0x7000, v10
; %bb.2745:                             ;   in Loop: Header=BB1_2 Depth=1
	s_or_b32 exec_lo, exec_lo, s35
.LBB1_2746:                             ;   in Loop: Header=BB1_2 Depth=1
	s_and_not1_saveexec_b32 s34, s34
; %bb.2747:                             ;   in Loop: Header=BB1_2 Depth=1
	s_delay_alu instid0(VALU_DEP_1)
	v_or_b32_e32 v10, 0x7400, v10
; %bb.2748:                             ;   in Loop: Header=BB1_2 Depth=1
	s_or_b32 exec_lo, exec_lo, s34
.LBB1_2749:                             ;   in Loop: Header=BB1_2 Depth=1
	s_and_not1_saveexec_b32 s33, s33
; %bb.2750:                             ;   in Loop: Header=BB1_2 Depth=1
	s_delay_alu instid0(VALU_DEP_1)
	v_or_b32_e32 v10, 0x7800, v10
; %bb.2751:                             ;   in Loop: Header=BB1_2 Depth=1
	s_or_b32 exec_lo, exec_lo, s33
.LBB1_2752:                             ;   in Loop: Header=BB1_2 Depth=1
	s_and_not1_saveexec_b32 s31, s31
; %bb.2753:                             ;   in Loop: Header=BB1_2 Depth=1
	s_delay_alu instid0(VALU_DEP_1)
	v_or_b32_e32 v10, 0x7c00, v10
; %bb.2754:                             ;   in Loop: Header=BB1_2 Depth=1
	s_or_b32 exec_lo, exec_lo, s31
	v_mov_b32_e32 v0, s1
	s_mov_b32 s31, exec_lo
	ds_load_2addr_b64 v[12:15], v0 offset0:78 offset1:79
	ds_load_b64 v[16:17], v0 offset:640
	s_wait_dscnt 0x1
	v_mul_f64_e32 v[0:1], v[4:5], v[14:15]
	s_delay_alu instid0(VALU_DEP_1) | instskip(SKIP_1) | instid1(VALU_DEP_1)
	v_fmac_f64_e32 v[0:1], v[2:3], v[12:13]
	s_wait_dscnt 0x0
	v_fmac_f64_e32 v[0:1], v[6:7], v[16:17]
	s_delay_alu instid0(VALU_DEP_1)
	v_cmpx_ngt_f64_e32 s[28:29], v[0:1]
	s_xor_b32 s31, exec_lo, s31
	s_cbranch_execz .LBB1_2874
; %bb.2755:                             ;   in Loop: Header=BB1_2 Depth=1
	s_mov_b32 s33, exec_lo
	v_cmpx_ngt_f64_e32 s[70:71], v[0:1]
	s_xor_b32 s33, exec_lo, s33
	s_cbranch_execz .LBB1_2871
; %bb.2756:                             ;   in Loop: Header=BB1_2 Depth=1
	s_mov_b32 s34, exec_lo
	;; [unrolled: 5-line block ×30, first 2 shown]
	v_cmpx_gt_f64_e32 s[52:53], v[0:1]
; %bb.2785:                             ;   in Loop: Header=BB1_2 Depth=1
	v_add_nc_u32_e32 v10, 0x40000, v10
; %bb.2786:                             ;   in Loop: Header=BB1_2 Depth=1
	s_or_b32 exec_lo, exec_lo, s98
.LBB1_2787:                             ;   in Loop: Header=BB1_2 Depth=1
	s_and_not1_saveexec_b32 s97, s97
; %bb.2788:                             ;   in Loop: Header=BB1_2 Depth=1
	s_delay_alu instid0(VALU_DEP_1)
	v_add_nc_u32_e32 v10, 0x80000, v10
; %bb.2789:                             ;   in Loop: Header=BB1_2 Depth=1
	s_or_b32 exec_lo, exec_lo, s97
.LBB1_2790:                             ;   in Loop: Header=BB1_2 Depth=1
	s_and_not1_saveexec_b32 s96, s96
; %bb.2791:                             ;   in Loop: Header=BB1_2 Depth=1
	s_delay_alu instid0(VALU_DEP_1)
	v_add_nc_u32_e32 v10, 0xc0000, v10
; %bb.2792:                             ;   in Loop: Header=BB1_2 Depth=1
	s_or_b32 exec_lo, exec_lo, s96
.LBB1_2793:                             ;   in Loop: Header=BB1_2 Depth=1
	s_and_not1_saveexec_b32 s95, s95
; %bb.2794:                             ;   in Loop: Header=BB1_2 Depth=1
	s_delay_alu instid0(VALU_DEP_1)
	v_add_nc_u32_e32 v10, 0x100000, v10
; %bb.2795:                             ;   in Loop: Header=BB1_2 Depth=1
	s_or_b32 exec_lo, exec_lo, s95
.LBB1_2796:                             ;   in Loop: Header=BB1_2 Depth=1
	s_and_not1_saveexec_b32 s94, s94
; %bb.2797:                             ;   in Loop: Header=BB1_2 Depth=1
	s_delay_alu instid0(VALU_DEP_1)
	v_add_nc_u32_e32 v10, 0x140000, v10
; %bb.2798:                             ;   in Loop: Header=BB1_2 Depth=1
	s_or_b32 exec_lo, exec_lo, s94
.LBB1_2799:                             ;   in Loop: Header=BB1_2 Depth=1
	s_and_not1_saveexec_b32 s93, s93
; %bb.2800:                             ;   in Loop: Header=BB1_2 Depth=1
	s_delay_alu instid0(VALU_DEP_1)
	v_add_nc_u32_e32 v10, 0x180000, v10
; %bb.2801:                             ;   in Loop: Header=BB1_2 Depth=1
	s_or_b32 exec_lo, exec_lo, s93
.LBB1_2802:                             ;   in Loop: Header=BB1_2 Depth=1
	s_and_not1_saveexec_b32 s92, s92
; %bb.2803:                             ;   in Loop: Header=BB1_2 Depth=1
	s_delay_alu instid0(VALU_DEP_1)
	v_add_nc_u32_e32 v10, 0x1c0000, v10
; %bb.2804:                             ;   in Loop: Header=BB1_2 Depth=1
	s_or_b32 exec_lo, exec_lo, s92
.LBB1_2805:                             ;   in Loop: Header=BB1_2 Depth=1
	s_and_not1_saveexec_b32 s91, s91
; %bb.2806:                             ;   in Loop: Header=BB1_2 Depth=1
	s_delay_alu instid0(VALU_DEP_1)
	v_add_nc_u32_e32 v10, 0x200000, v10
; %bb.2807:                             ;   in Loop: Header=BB1_2 Depth=1
	s_or_b32 exec_lo, exec_lo, s91
.LBB1_2808:                             ;   in Loop: Header=BB1_2 Depth=1
	s_and_not1_saveexec_b32 s90, s90
; %bb.2809:                             ;   in Loop: Header=BB1_2 Depth=1
	s_delay_alu instid0(VALU_DEP_1)
	v_add_nc_u32_e32 v10, 0x240000, v10
; %bb.2810:                             ;   in Loop: Header=BB1_2 Depth=1
	s_or_b32 exec_lo, exec_lo, s90
.LBB1_2811:                             ;   in Loop: Header=BB1_2 Depth=1
	s_and_not1_saveexec_b32 s89, s89
; %bb.2812:                             ;   in Loop: Header=BB1_2 Depth=1
	s_delay_alu instid0(VALU_DEP_1)
	v_add_nc_u32_e32 v10, 0x280000, v10
; %bb.2813:                             ;   in Loop: Header=BB1_2 Depth=1
	s_or_b32 exec_lo, exec_lo, s89
.LBB1_2814:                             ;   in Loop: Header=BB1_2 Depth=1
	s_and_not1_saveexec_b32 s88, s88
; %bb.2815:                             ;   in Loop: Header=BB1_2 Depth=1
	s_delay_alu instid0(VALU_DEP_1)
	v_add_nc_u32_e32 v10, 0x2c0000, v10
; %bb.2816:                             ;   in Loop: Header=BB1_2 Depth=1
	s_or_b32 exec_lo, exec_lo, s88
.LBB1_2817:                             ;   in Loop: Header=BB1_2 Depth=1
	s_and_not1_saveexec_b32 s87, s87
; %bb.2818:                             ;   in Loop: Header=BB1_2 Depth=1
	s_delay_alu instid0(VALU_DEP_1)
	v_add_nc_u32_e32 v10, 0x300000, v10
; %bb.2819:                             ;   in Loop: Header=BB1_2 Depth=1
	s_or_b32 exec_lo, exec_lo, s87
.LBB1_2820:                             ;   in Loop: Header=BB1_2 Depth=1
	s_and_not1_saveexec_b32 s86, s86
; %bb.2821:                             ;   in Loop: Header=BB1_2 Depth=1
	s_delay_alu instid0(VALU_DEP_1)
	v_add_nc_u32_e32 v10, 0x340000, v10
; %bb.2822:                             ;   in Loop: Header=BB1_2 Depth=1
	s_or_b32 exec_lo, exec_lo, s86
.LBB1_2823:                             ;   in Loop: Header=BB1_2 Depth=1
	s_and_not1_saveexec_b32 s85, s85
; %bb.2824:                             ;   in Loop: Header=BB1_2 Depth=1
	s_delay_alu instid0(VALU_DEP_1)
	v_add_nc_u32_e32 v10, 0x380000, v10
; %bb.2825:                             ;   in Loop: Header=BB1_2 Depth=1
	s_or_b32 exec_lo, exec_lo, s85
.LBB1_2826:                             ;   in Loop: Header=BB1_2 Depth=1
	s_and_not1_saveexec_b32 s84, s84
; %bb.2827:                             ;   in Loop: Header=BB1_2 Depth=1
	s_delay_alu instid0(VALU_DEP_1)
	v_add_nc_u32_e32 v10, 0x3c0000, v10
; %bb.2828:                             ;   in Loop: Header=BB1_2 Depth=1
	s_or_b32 exec_lo, exec_lo, s84
.LBB1_2829:                             ;   in Loop: Header=BB1_2 Depth=1
	s_and_not1_saveexec_b32 s83, s83
; %bb.2830:                             ;   in Loop: Header=BB1_2 Depth=1
	s_delay_alu instid0(VALU_DEP_1)
	v_add_nc_u32_e32 v10, 0x400000, v10
; %bb.2831:                             ;   in Loop: Header=BB1_2 Depth=1
	s_or_b32 exec_lo, exec_lo, s83
.LBB1_2832:                             ;   in Loop: Header=BB1_2 Depth=1
	s_and_not1_saveexec_b32 s82, s82
; %bb.2833:                             ;   in Loop: Header=BB1_2 Depth=1
	s_delay_alu instid0(VALU_DEP_1)
	v_add_nc_u32_e32 v10, 0x440000, v10
; %bb.2834:                             ;   in Loop: Header=BB1_2 Depth=1
	s_or_b32 exec_lo, exec_lo, s82
.LBB1_2835:                             ;   in Loop: Header=BB1_2 Depth=1
	s_and_not1_saveexec_b32 s81, s81
; %bb.2836:                             ;   in Loop: Header=BB1_2 Depth=1
	s_delay_alu instid0(VALU_DEP_1)
	v_add_nc_u32_e32 v10, 0x480000, v10
; %bb.2837:                             ;   in Loop: Header=BB1_2 Depth=1
	s_or_b32 exec_lo, exec_lo, s81
.LBB1_2838:                             ;   in Loop: Header=BB1_2 Depth=1
	s_and_not1_saveexec_b32 s80, s80
; %bb.2839:                             ;   in Loop: Header=BB1_2 Depth=1
	s_delay_alu instid0(VALU_DEP_1)
	v_add_nc_u32_e32 v10, 0x4c0000, v10
; %bb.2840:                             ;   in Loop: Header=BB1_2 Depth=1
	s_or_b32 exec_lo, exec_lo, s80
.LBB1_2841:                             ;   in Loop: Header=BB1_2 Depth=1
	s_and_not1_saveexec_b32 s79, s79
; %bb.2842:                             ;   in Loop: Header=BB1_2 Depth=1
	s_delay_alu instid0(VALU_DEP_1)
	v_add_nc_u32_e32 v10, 0x500000, v10
; %bb.2843:                             ;   in Loop: Header=BB1_2 Depth=1
	s_or_b32 exec_lo, exec_lo, s79
.LBB1_2844:                             ;   in Loop: Header=BB1_2 Depth=1
	s_and_not1_saveexec_b32 s78, s78
; %bb.2845:                             ;   in Loop: Header=BB1_2 Depth=1
	s_delay_alu instid0(VALU_DEP_1)
	v_add_nc_u32_e32 v10, 0x540000, v10
; %bb.2846:                             ;   in Loop: Header=BB1_2 Depth=1
	s_or_b32 exec_lo, exec_lo, s78
.LBB1_2847:                             ;   in Loop: Header=BB1_2 Depth=1
	s_and_not1_saveexec_b32 s77, s77
; %bb.2848:                             ;   in Loop: Header=BB1_2 Depth=1
	s_delay_alu instid0(VALU_DEP_1)
	v_add_nc_u32_e32 v10, 0x580000, v10
; %bb.2849:                             ;   in Loop: Header=BB1_2 Depth=1
	s_or_b32 exec_lo, exec_lo, s77
.LBB1_2850:                             ;   in Loop: Header=BB1_2 Depth=1
	s_and_not1_saveexec_b32 s76, s76
; %bb.2851:                             ;   in Loop: Header=BB1_2 Depth=1
	s_delay_alu instid0(VALU_DEP_1)
	v_add_nc_u32_e32 v10, 0x5c0000, v10
; %bb.2852:                             ;   in Loop: Header=BB1_2 Depth=1
	s_or_b32 exec_lo, exec_lo, s76
.LBB1_2853:                             ;   in Loop: Header=BB1_2 Depth=1
	s_and_not1_saveexec_b32 s75, s75
; %bb.2854:                             ;   in Loop: Header=BB1_2 Depth=1
	s_delay_alu instid0(VALU_DEP_1)
	v_add_nc_u32_e32 v10, 0x600000, v10
; %bb.2855:                             ;   in Loop: Header=BB1_2 Depth=1
	s_or_b32 exec_lo, exec_lo, s75
.LBB1_2856:                             ;   in Loop: Header=BB1_2 Depth=1
	s_and_not1_saveexec_b32 s74, s74
; %bb.2857:                             ;   in Loop: Header=BB1_2 Depth=1
	s_delay_alu instid0(VALU_DEP_1)
	v_add_nc_u32_e32 v10, 0x640000, v10
; %bb.2858:                             ;   in Loop: Header=BB1_2 Depth=1
	s_or_b32 exec_lo, exec_lo, s74
.LBB1_2859:                             ;   in Loop: Header=BB1_2 Depth=1
	s_and_not1_saveexec_b32 s73, s73
; %bb.2860:                             ;   in Loop: Header=BB1_2 Depth=1
	s_delay_alu instid0(VALU_DEP_1)
	v_add_nc_u32_e32 v10, 0x680000, v10
; %bb.2861:                             ;   in Loop: Header=BB1_2 Depth=1
	s_or_b32 exec_lo, exec_lo, s73
.LBB1_2862:                             ;   in Loop: Header=BB1_2 Depth=1
	s_and_not1_saveexec_b32 s72, s72
; %bb.2863:                             ;   in Loop: Header=BB1_2 Depth=1
	s_delay_alu instid0(VALU_DEP_1)
	v_add_nc_u32_e32 v10, 0x6c0000, v10
; %bb.2864:                             ;   in Loop: Header=BB1_2 Depth=1
	s_or_b32 exec_lo, exec_lo, s72
.LBB1_2865:                             ;   in Loop: Header=BB1_2 Depth=1
	s_and_not1_saveexec_b32 s35, s35
; %bb.2866:                             ;   in Loop: Header=BB1_2 Depth=1
	s_delay_alu instid0(VALU_DEP_1)
	v_add_nc_u32_e32 v10, 0x700000, v10
; %bb.2867:                             ;   in Loop: Header=BB1_2 Depth=1
	s_or_b32 exec_lo, exec_lo, s35
.LBB1_2868:                             ;   in Loop: Header=BB1_2 Depth=1
	s_and_not1_saveexec_b32 s34, s34
; %bb.2869:                             ;   in Loop: Header=BB1_2 Depth=1
	s_delay_alu instid0(VALU_DEP_1)
	v_add_nc_u32_e32 v10, 0x740000, v10
; %bb.2870:                             ;   in Loop: Header=BB1_2 Depth=1
	s_or_b32 exec_lo, exec_lo, s34
.LBB1_2871:                             ;   in Loop: Header=BB1_2 Depth=1
	s_and_not1_saveexec_b32 s33, s33
; %bb.2872:                             ;   in Loop: Header=BB1_2 Depth=1
	s_delay_alu instid0(VALU_DEP_1)
	v_add_nc_u32_e32 v10, 0x780000, v10
; %bb.2873:                             ;   in Loop: Header=BB1_2 Depth=1
	s_or_b32 exec_lo, exec_lo, s33
.LBB1_2874:                             ;   in Loop: Header=BB1_2 Depth=1
	s_and_not1_saveexec_b32 s31, s31
; %bb.2875:                             ;   in Loop: Header=BB1_2 Depth=1
	s_delay_alu instid0(VALU_DEP_1)
	v_add_nc_u32_e32 v10, 0x7c0000, v10
; %bb.2876:                             ;   in Loop: Header=BB1_2 Depth=1
	s_or_b32 exec_lo, exec_lo, s31
	v_mov_b32_e32 v0, s1
	s_mov_b32 s31, exec_lo
	ds_load_2addr_b64 v[12:15], v0 offset0:81 offset1:82
	ds_load_b64 v[16:17], v0 offset:664
	s_wait_dscnt 0x1
	v_mul_f64_e32 v[0:1], v[4:5], v[14:15]
	s_delay_alu instid0(VALU_DEP_1) | instskip(SKIP_1) | instid1(VALU_DEP_1)
	v_fmac_f64_e32 v[0:1], v[2:3], v[12:13]
	s_wait_dscnt 0x0
	v_fmac_f64_e32 v[0:1], v[6:7], v[16:17]
	s_delay_alu instid0(VALU_DEP_1)
	v_cmpx_ngt_f64_e32 s[28:29], v[0:1]
	s_xor_b32 s31, exec_lo, s31
	s_cbranch_execz .LBB1_2996
; %bb.2877:                             ;   in Loop: Header=BB1_2 Depth=1
	s_mov_b32 s33, exec_lo
	v_cmpx_ngt_f64_e32 s[70:71], v[0:1]
	s_xor_b32 s33, exec_lo, s33
	s_cbranch_execz .LBB1_2993
; %bb.2878:                             ;   in Loop: Header=BB1_2 Depth=1
	s_mov_b32 s34, exec_lo
	v_cmpx_ngt_f64_e32 s[68:69], v[0:1]
	s_xor_b32 s34, exec_lo, s34
	s_cbranch_execz .LBB1_2990
; %bb.2879:                             ;   in Loop: Header=BB1_2 Depth=1
	s_mov_b32 s35, exec_lo
	v_cmpx_ngt_f64_e32 s[26:27], v[0:1]
	s_xor_b32 s35, exec_lo, s35
	s_cbranch_execz .LBB1_2987
; %bb.2880:                             ;   in Loop: Header=BB1_2 Depth=1
	s_mov_b32 s72, exec_lo
	v_cmpx_ngt_f64_e32 s[24:25], v[0:1]
	s_xor_b32 s72, exec_lo, s72
	s_cbranch_execz .LBB1_2984
; %bb.2881:                             ;   in Loop: Header=BB1_2 Depth=1
	s_mov_b32 s73, exec_lo
	v_cmpx_ngt_f64_e32 s[22:23], v[0:1]
	s_xor_b32 s73, exec_lo, s73
	s_cbranch_execz .LBB1_2981
; %bb.2882:                             ;   in Loop: Header=BB1_2 Depth=1
	s_mov_b32 s74, exec_lo
	v_cmpx_ngt_f64_e32 s[20:21], v[0:1]
	s_xor_b32 s74, exec_lo, s74
	s_cbranch_execz .LBB1_2978
; %bb.2883:                             ;   in Loop: Header=BB1_2 Depth=1
	s_mov_b32 s75, exec_lo
	v_cmpx_ngt_f64_e32 s[18:19], v[0:1]
	s_xor_b32 s75, exec_lo, s75
	s_cbranch_execz .LBB1_2975
; %bb.2884:                             ;   in Loop: Header=BB1_2 Depth=1
	s_mov_b32 s76, exec_lo
	v_cmpx_ngt_f64_e32 s[16:17], v[0:1]
	s_xor_b32 s76, exec_lo, s76
	s_cbranch_execz .LBB1_2972
; %bb.2885:                             ;   in Loop: Header=BB1_2 Depth=1
	s_mov_b32 s77, exec_lo
	v_cmpx_ngt_f64_e32 s[14:15], v[0:1]
	s_xor_b32 s77, exec_lo, s77
	s_cbranch_execz .LBB1_2969
; %bb.2886:                             ;   in Loop: Header=BB1_2 Depth=1
	s_mov_b32 s78, exec_lo
	v_cmpx_ngt_f64_e32 s[12:13], v[0:1]
	s_xor_b32 s78, exec_lo, s78
	s_cbranch_execz .LBB1_2966
; %bb.2887:                             ;   in Loop: Header=BB1_2 Depth=1
	s_mov_b32 s79, exec_lo
	v_cmpx_ngt_f64_e32 s[10:11], v[0:1]
	s_xor_b32 s79, exec_lo, s79
	s_cbranch_execz .LBB1_2963
; %bb.2888:                             ;   in Loop: Header=BB1_2 Depth=1
	s_mov_b32 s80, exec_lo
	v_cmpx_ngt_f64_e32 s[8:9], v[0:1]
	s_xor_b32 s80, exec_lo, s80
	s_cbranch_execz .LBB1_2960
; %bb.2889:                             ;   in Loop: Header=BB1_2 Depth=1
	s_mov_b32 s81, exec_lo
	v_cmpx_ngt_f64_e32 s[6:7], v[0:1]
	s_xor_b32 s81, exec_lo, s81
	s_cbranch_execz .LBB1_2957
; %bb.2890:                             ;   in Loop: Header=BB1_2 Depth=1
	s_mov_b32 s82, exec_lo
	v_cmpx_ngt_f64_e32 s[4:5], v[0:1]
	s_xor_b32 s82, exec_lo, s82
	s_cbranch_execz .LBB1_2954
; %bb.2891:                             ;   in Loop: Header=BB1_2 Depth=1
	s_mov_b32 s83, exec_lo
	v_cmpx_ngt_f64_e32 s[50:51], v[0:1]
	s_xor_b32 s83, exec_lo, s83
	s_cbranch_execz .LBB1_2951
; %bb.2892:                             ;   in Loop: Header=BB1_2 Depth=1
	s_mov_b32 s84, exec_lo
	v_cmpx_ngt_f64_e32 s[48:49], v[0:1]
	s_xor_b32 s84, exec_lo, s84
	s_cbranch_execz .LBB1_2948
; %bb.2893:                             ;   in Loop: Header=BB1_2 Depth=1
	s_mov_b32 s85, exec_lo
	v_cmpx_ngt_f64_e32 s[46:47], v[0:1]
	s_xor_b32 s85, exec_lo, s85
	s_cbranch_execz .LBB1_2945
; %bb.2894:                             ;   in Loop: Header=BB1_2 Depth=1
	s_mov_b32 s86, exec_lo
	v_cmpx_ngt_f64_e32 s[44:45], v[0:1]
	s_xor_b32 s86, exec_lo, s86
	s_cbranch_execz .LBB1_2942
; %bb.2895:                             ;   in Loop: Header=BB1_2 Depth=1
	s_mov_b32 s87, exec_lo
	v_cmpx_ngt_f64_e32 s[42:43], v[0:1]
	s_xor_b32 s87, exec_lo, s87
	s_cbranch_execz .LBB1_2939
; %bb.2896:                             ;   in Loop: Header=BB1_2 Depth=1
	s_mov_b32 s88, exec_lo
	v_cmpx_ngt_f64_e32 s[40:41], v[0:1]
	s_xor_b32 s88, exec_lo, s88
	s_cbranch_execz .LBB1_2936
; %bb.2897:                             ;   in Loop: Header=BB1_2 Depth=1
	s_mov_b32 s89, exec_lo
	v_cmpx_ngt_f64_e32 s[38:39], v[0:1]
	s_xor_b32 s89, exec_lo, s89
	s_cbranch_execz .LBB1_2933
; %bb.2898:                             ;   in Loop: Header=BB1_2 Depth=1
	s_mov_b32 s90, exec_lo
	v_cmpx_ngt_f64_e32 s[36:37], v[0:1]
	s_xor_b32 s90, exec_lo, s90
	s_cbranch_execz .LBB1_2930
; %bb.2899:                             ;   in Loop: Header=BB1_2 Depth=1
	s_mov_b32 s91, exec_lo
	v_cmpx_ngt_f64_e32 s[66:67], v[0:1]
	s_xor_b32 s91, exec_lo, s91
	s_cbranch_execz .LBB1_2927
; %bb.2900:                             ;   in Loop: Header=BB1_2 Depth=1
	s_mov_b32 s92, exec_lo
	v_cmpx_ngt_f64_e32 s[64:65], v[0:1]
	s_xor_b32 s92, exec_lo, s92
	s_cbranch_execz .LBB1_2924
; %bb.2901:                             ;   in Loop: Header=BB1_2 Depth=1
	s_mov_b32 s93, exec_lo
	v_cmpx_ngt_f64_e32 s[62:63], v[0:1]
	s_xor_b32 s93, exec_lo, s93
	s_cbranch_execz .LBB1_2921
; %bb.2902:                             ;   in Loop: Header=BB1_2 Depth=1
	s_mov_b32 s94, exec_lo
	v_cmpx_ngt_f64_e32 s[60:61], v[0:1]
	s_xor_b32 s94, exec_lo, s94
	s_cbranch_execz .LBB1_2918
; %bb.2903:                             ;   in Loop: Header=BB1_2 Depth=1
	s_mov_b32 s95, exec_lo
	v_cmpx_ngt_f64_e32 s[58:59], v[0:1]
	s_xor_b32 s95, exec_lo, s95
	s_cbranch_execz .LBB1_2915
; %bb.2904:                             ;   in Loop: Header=BB1_2 Depth=1
	s_mov_b32 s96, exec_lo
	v_cmpx_ngt_f64_e32 s[56:57], v[0:1]
	s_xor_b32 s96, exec_lo, s96
	s_cbranch_execz .LBB1_2912
; %bb.2905:                             ;   in Loop: Header=BB1_2 Depth=1
	s_mov_b32 s97, exec_lo
	v_cmpx_ngt_f64_e32 s[54:55], v[0:1]
	s_xor_b32 s97, exec_lo, s97
	s_cbranch_execz .LBB1_2909
; %bb.2906:                             ;   in Loop: Header=BB1_2 Depth=1
	s_mov_b32 s98, exec_lo
	v_cmpx_gt_f64_e32 s[52:53], v[0:1]
; %bb.2907:                             ;   in Loop: Header=BB1_2 Depth=1
	v_add_nc_u32_e32 v10, 0x4000000, v10
; %bb.2908:                             ;   in Loop: Header=BB1_2 Depth=1
	s_or_b32 exec_lo, exec_lo, s98
.LBB1_2909:                             ;   in Loop: Header=BB1_2 Depth=1
	s_and_not1_saveexec_b32 s97, s97
; %bb.2910:                             ;   in Loop: Header=BB1_2 Depth=1
	s_delay_alu instid0(VALU_DEP_1)
	v_add_nc_u32_e32 v10, 0x8000000, v10
; %bb.2911:                             ;   in Loop: Header=BB1_2 Depth=1
	s_or_b32 exec_lo, exec_lo, s97
.LBB1_2912:                             ;   in Loop: Header=BB1_2 Depth=1
	s_and_not1_saveexec_b32 s96, s96
; %bb.2913:                             ;   in Loop: Header=BB1_2 Depth=1
	s_delay_alu instid0(VALU_DEP_1)
	v_add_nc_u32_e32 v10, 0xc000000, v10
; %bb.2914:                             ;   in Loop: Header=BB1_2 Depth=1
	s_or_b32 exec_lo, exec_lo, s96
.LBB1_2915:                             ;   in Loop: Header=BB1_2 Depth=1
	s_and_not1_saveexec_b32 s95, s95
; %bb.2916:                             ;   in Loop: Header=BB1_2 Depth=1
	s_delay_alu instid0(VALU_DEP_1)
	v_add_nc_u32_e32 v10, 0x10000000, v10
; %bb.2917:                             ;   in Loop: Header=BB1_2 Depth=1
	s_or_b32 exec_lo, exec_lo, s95
.LBB1_2918:                             ;   in Loop: Header=BB1_2 Depth=1
	s_and_not1_saveexec_b32 s94, s94
; %bb.2919:                             ;   in Loop: Header=BB1_2 Depth=1
	s_delay_alu instid0(VALU_DEP_1)
	v_add_nc_u32_e32 v10, 0x14000000, v10
; %bb.2920:                             ;   in Loop: Header=BB1_2 Depth=1
	s_or_b32 exec_lo, exec_lo, s94
.LBB1_2921:                             ;   in Loop: Header=BB1_2 Depth=1
	s_and_not1_saveexec_b32 s93, s93
; %bb.2922:                             ;   in Loop: Header=BB1_2 Depth=1
	s_delay_alu instid0(VALU_DEP_1)
	v_add_nc_u32_e32 v10, 0x18000000, v10
; %bb.2923:                             ;   in Loop: Header=BB1_2 Depth=1
	s_or_b32 exec_lo, exec_lo, s93
.LBB1_2924:                             ;   in Loop: Header=BB1_2 Depth=1
	s_and_not1_saveexec_b32 s92, s92
; %bb.2925:                             ;   in Loop: Header=BB1_2 Depth=1
	s_delay_alu instid0(VALU_DEP_1)
	v_add_nc_u32_e32 v10, 0x1c000000, v10
; %bb.2926:                             ;   in Loop: Header=BB1_2 Depth=1
	s_or_b32 exec_lo, exec_lo, s92
.LBB1_2927:                             ;   in Loop: Header=BB1_2 Depth=1
	s_and_not1_saveexec_b32 s91, s91
; %bb.2928:                             ;   in Loop: Header=BB1_2 Depth=1
	s_delay_alu instid0(VALU_DEP_1)
	v_add_nc_u32_e32 v10, 0x20000000, v10
; %bb.2929:                             ;   in Loop: Header=BB1_2 Depth=1
	s_or_b32 exec_lo, exec_lo, s91
.LBB1_2930:                             ;   in Loop: Header=BB1_2 Depth=1
	s_and_not1_saveexec_b32 s90, s90
; %bb.2931:                             ;   in Loop: Header=BB1_2 Depth=1
	s_delay_alu instid0(VALU_DEP_1)
	v_add_nc_u32_e32 v10, 0x24000000, v10
; %bb.2932:                             ;   in Loop: Header=BB1_2 Depth=1
	s_or_b32 exec_lo, exec_lo, s90
.LBB1_2933:                             ;   in Loop: Header=BB1_2 Depth=1
	s_and_not1_saveexec_b32 s89, s89
; %bb.2934:                             ;   in Loop: Header=BB1_2 Depth=1
	s_delay_alu instid0(VALU_DEP_1)
	v_add_nc_u32_e32 v10, 0x28000000, v10
; %bb.2935:                             ;   in Loop: Header=BB1_2 Depth=1
	s_or_b32 exec_lo, exec_lo, s89
.LBB1_2936:                             ;   in Loop: Header=BB1_2 Depth=1
	s_and_not1_saveexec_b32 s88, s88
; %bb.2937:                             ;   in Loop: Header=BB1_2 Depth=1
	s_delay_alu instid0(VALU_DEP_1)
	v_add_nc_u32_e32 v10, 0x2c000000, v10
; %bb.2938:                             ;   in Loop: Header=BB1_2 Depth=1
	s_or_b32 exec_lo, exec_lo, s88
.LBB1_2939:                             ;   in Loop: Header=BB1_2 Depth=1
	s_and_not1_saveexec_b32 s87, s87
; %bb.2940:                             ;   in Loop: Header=BB1_2 Depth=1
	s_delay_alu instid0(VALU_DEP_1)
	v_add_nc_u32_e32 v10, 0x30000000, v10
; %bb.2941:                             ;   in Loop: Header=BB1_2 Depth=1
	s_or_b32 exec_lo, exec_lo, s87
.LBB1_2942:                             ;   in Loop: Header=BB1_2 Depth=1
	s_and_not1_saveexec_b32 s86, s86
; %bb.2943:                             ;   in Loop: Header=BB1_2 Depth=1
	s_delay_alu instid0(VALU_DEP_1)
	v_add_nc_u32_e32 v10, 0x34000000, v10
; %bb.2944:                             ;   in Loop: Header=BB1_2 Depth=1
	s_or_b32 exec_lo, exec_lo, s86
.LBB1_2945:                             ;   in Loop: Header=BB1_2 Depth=1
	s_and_not1_saveexec_b32 s85, s85
; %bb.2946:                             ;   in Loop: Header=BB1_2 Depth=1
	s_delay_alu instid0(VALU_DEP_1)
	v_add_nc_u32_e32 v10, 0x38000000, v10
; %bb.2947:                             ;   in Loop: Header=BB1_2 Depth=1
	s_or_b32 exec_lo, exec_lo, s85
.LBB1_2948:                             ;   in Loop: Header=BB1_2 Depth=1
	s_and_not1_saveexec_b32 s84, s84
; %bb.2949:                             ;   in Loop: Header=BB1_2 Depth=1
	s_delay_alu instid0(VALU_DEP_1)
	v_add_nc_u32_e32 v10, 0x3c000000, v10
; %bb.2950:                             ;   in Loop: Header=BB1_2 Depth=1
	s_or_b32 exec_lo, exec_lo, s84
.LBB1_2951:                             ;   in Loop: Header=BB1_2 Depth=1
	s_and_not1_saveexec_b32 s83, s83
; %bb.2952:                             ;   in Loop: Header=BB1_2 Depth=1
	s_delay_alu instid0(VALU_DEP_1)
	v_add_nc_u32_e32 v10, 2.0, v10
; %bb.2953:                             ;   in Loop: Header=BB1_2 Depth=1
	s_or_b32 exec_lo, exec_lo, s83
.LBB1_2954:                             ;   in Loop: Header=BB1_2 Depth=1
	s_and_not1_saveexec_b32 s82, s82
; %bb.2955:                             ;   in Loop: Header=BB1_2 Depth=1
	s_delay_alu instid0(VALU_DEP_1)
	v_add_nc_u32_e32 v10, 0x44000000, v10
; %bb.2956:                             ;   in Loop: Header=BB1_2 Depth=1
	s_or_b32 exec_lo, exec_lo, s82
.LBB1_2957:                             ;   in Loop: Header=BB1_2 Depth=1
	s_and_not1_saveexec_b32 s81, s81
; %bb.2958:                             ;   in Loop: Header=BB1_2 Depth=1
	s_delay_alu instid0(VALU_DEP_1)
	v_add_nc_u32_e32 v10, 0x48000000, v10
; %bb.2959:                             ;   in Loop: Header=BB1_2 Depth=1
	s_or_b32 exec_lo, exec_lo, s81
.LBB1_2960:                             ;   in Loop: Header=BB1_2 Depth=1
	s_and_not1_saveexec_b32 s80, s80
; %bb.2961:                             ;   in Loop: Header=BB1_2 Depth=1
	s_delay_alu instid0(VALU_DEP_1)
	v_add_nc_u32_e32 v10, 0x4c000000, v10
; %bb.2962:                             ;   in Loop: Header=BB1_2 Depth=1
	s_or_b32 exec_lo, exec_lo, s80
.LBB1_2963:                             ;   in Loop: Header=BB1_2 Depth=1
	s_and_not1_saveexec_b32 s79, s79
; %bb.2964:                             ;   in Loop: Header=BB1_2 Depth=1
	s_delay_alu instid0(VALU_DEP_1)
	v_add_nc_u32_e32 v10, 0x50000000, v10
; %bb.2965:                             ;   in Loop: Header=BB1_2 Depth=1
	s_or_b32 exec_lo, exec_lo, s79
.LBB1_2966:                             ;   in Loop: Header=BB1_2 Depth=1
	s_and_not1_saveexec_b32 s78, s78
; %bb.2967:                             ;   in Loop: Header=BB1_2 Depth=1
	s_delay_alu instid0(VALU_DEP_1)
	v_add_nc_u32_e32 v10, 0x54000000, v10
; %bb.2968:                             ;   in Loop: Header=BB1_2 Depth=1
	s_or_b32 exec_lo, exec_lo, s78
.LBB1_2969:                             ;   in Loop: Header=BB1_2 Depth=1
	s_and_not1_saveexec_b32 s77, s77
; %bb.2970:                             ;   in Loop: Header=BB1_2 Depth=1
	s_delay_alu instid0(VALU_DEP_1)
	v_add_nc_u32_e32 v10, 0x58000000, v10
; %bb.2971:                             ;   in Loop: Header=BB1_2 Depth=1
	s_or_b32 exec_lo, exec_lo, s77
.LBB1_2972:                             ;   in Loop: Header=BB1_2 Depth=1
	s_and_not1_saveexec_b32 s76, s76
; %bb.2973:                             ;   in Loop: Header=BB1_2 Depth=1
	s_delay_alu instid0(VALU_DEP_1)
	v_add_nc_u32_e32 v10, 0x5c000000, v10
; %bb.2974:                             ;   in Loop: Header=BB1_2 Depth=1
	s_or_b32 exec_lo, exec_lo, s76
.LBB1_2975:                             ;   in Loop: Header=BB1_2 Depth=1
	s_and_not1_saveexec_b32 s75, s75
; %bb.2976:                             ;   in Loop: Header=BB1_2 Depth=1
	s_delay_alu instid0(VALU_DEP_1)
	v_add_nc_u32_e32 v10, 0x60000000, v10
; %bb.2977:                             ;   in Loop: Header=BB1_2 Depth=1
	s_or_b32 exec_lo, exec_lo, s75
.LBB1_2978:                             ;   in Loop: Header=BB1_2 Depth=1
	s_and_not1_saveexec_b32 s74, s74
; %bb.2979:                             ;   in Loop: Header=BB1_2 Depth=1
	s_delay_alu instid0(VALU_DEP_1)
	v_add_nc_u32_e32 v10, 0x64000000, v10
; %bb.2980:                             ;   in Loop: Header=BB1_2 Depth=1
	s_or_b32 exec_lo, exec_lo, s74
.LBB1_2981:                             ;   in Loop: Header=BB1_2 Depth=1
	s_and_not1_saveexec_b32 s73, s73
; %bb.2982:                             ;   in Loop: Header=BB1_2 Depth=1
	s_delay_alu instid0(VALU_DEP_1)
	v_add_nc_u32_e32 v10, 0x68000000, v10
; %bb.2983:                             ;   in Loop: Header=BB1_2 Depth=1
	s_or_b32 exec_lo, exec_lo, s73
.LBB1_2984:                             ;   in Loop: Header=BB1_2 Depth=1
	s_and_not1_saveexec_b32 s72, s72
; %bb.2985:                             ;   in Loop: Header=BB1_2 Depth=1
	s_delay_alu instid0(VALU_DEP_1)
	v_add_nc_u32_e32 v10, 0x6c000000, v10
; %bb.2986:                             ;   in Loop: Header=BB1_2 Depth=1
	s_or_b32 exec_lo, exec_lo, s72
.LBB1_2987:                             ;   in Loop: Header=BB1_2 Depth=1
	s_and_not1_saveexec_b32 s35, s35
; %bb.2988:                             ;   in Loop: Header=BB1_2 Depth=1
	s_delay_alu instid0(VALU_DEP_1)
	v_add_nc_u32_e32 v10, 0x70000000, v10
; %bb.2989:                             ;   in Loop: Header=BB1_2 Depth=1
	s_or_b32 exec_lo, exec_lo, s35
.LBB1_2990:                             ;   in Loop: Header=BB1_2 Depth=1
	s_and_not1_saveexec_b32 s34, s34
; %bb.2991:                             ;   in Loop: Header=BB1_2 Depth=1
	s_delay_alu instid0(VALU_DEP_1)
	v_add_nc_u32_e32 v10, 0x74000000, v10
; %bb.2992:                             ;   in Loop: Header=BB1_2 Depth=1
	s_or_b32 exec_lo, exec_lo, s34
.LBB1_2993:                             ;   in Loop: Header=BB1_2 Depth=1
	s_and_not1_saveexec_b32 s33, s33
; %bb.2994:                             ;   in Loop: Header=BB1_2 Depth=1
	s_delay_alu instid0(VALU_DEP_1)
	v_add_nc_u32_e32 v10, 0x78000000, v10
; %bb.2995:                             ;   in Loop: Header=BB1_2 Depth=1
	s_or_b32 exec_lo, exec_lo, s33
.LBB1_2996:                             ;   in Loop: Header=BB1_2 Depth=1
	s_and_not1_saveexec_b32 s31, s31
; %bb.2997:                             ;   in Loop: Header=BB1_2 Depth=1
	s_delay_alu instid0(VALU_DEP_1)
	v_add_nc_u32_e32 v10, 0x7c000000, v10
; %bb.2998:                             ;   in Loop: Header=BB1_2 Depth=1
	s_or_b32 exec_lo, exec_lo, s31
	v_dual_mov_b32 v0, s1 :: v_dual_mov_b32 v9, 0x7c
	v_add3_u32 v11, v8, s30, 0x18000
	s_mov_b32 s31, exec_lo
	ds_load_2addr_b64 v[12:15], v0 offset0:84 offset1:85
	ds_load_b64 v[16:17], v0 offset:688
	global_store_b32 v11, v10, s[2:3] scale_offset
	s_wait_dscnt 0x1
	v_mul_f64_e32 v[0:1], v[4:5], v[14:15]
	s_delay_alu instid0(VALU_DEP_1) | instskip(SKIP_1) | instid1(VALU_DEP_1)
	v_fmac_f64_e32 v[0:1], v[2:3], v[12:13]
	s_wait_dscnt 0x0
	v_fmac_f64_e32 v[0:1], v[6:7], v[16:17]
	s_wait_xcnt 0x0
	s_delay_alu instid0(VALU_DEP_1)
	v_cmpx_ngt_f64_e32 s[28:29], v[0:1]
	s_cbranch_execz .LBB1_3060
; %bb.2999:                             ;   in Loop: Header=BB1_2 Depth=1
	v_mov_b32_e32 v9, 0x78
	s_mov_b32 s33, exec_lo
	v_cmpx_ngt_f64_e32 s[70:71], v[0:1]
	s_cbranch_execz .LBB1_3059
; %bb.3000:                             ;   in Loop: Header=BB1_2 Depth=1
	v_mov_b32_e32 v9, 0x74
	s_mov_b32 s34, exec_lo
	;; [unrolled: 5-line block ×30, first 2 shown]
	v_cmpx_gt_f64_e32 s[52:53], v[0:1]
; %bb.3029:                             ;   in Loop: Header=BB1_2 Depth=1
	v_mov_b32_e32 v9, 4
; %bb.3030:                             ;   in Loop: Header=BB1_2 Depth=1
	s_or_b32 exec_lo, exec_lo, s98
.LBB1_3031:                             ;   in Loop: Header=BB1_2 Depth=1
	s_delay_alu instid0(SALU_CYCLE_1)
	s_or_b32 exec_lo, exec_lo, s97
.LBB1_3032:                             ;   in Loop: Header=BB1_2 Depth=1
	s_delay_alu instid0(SALU_CYCLE_1)
	s_or_b32 exec_lo, exec_lo, s96
.LBB1_3033:                             ;   in Loop: Header=BB1_2 Depth=1
	s_delay_alu instid0(SALU_CYCLE_1)
	s_or_b32 exec_lo, exec_lo, s95
.LBB1_3034:                             ;   in Loop: Header=BB1_2 Depth=1
	s_delay_alu instid0(SALU_CYCLE_1)
	s_or_b32 exec_lo, exec_lo, s94
.LBB1_3035:                             ;   in Loop: Header=BB1_2 Depth=1
	s_delay_alu instid0(SALU_CYCLE_1)
	s_or_b32 exec_lo, exec_lo, s93
.LBB1_3036:                             ;   in Loop: Header=BB1_2 Depth=1
	s_delay_alu instid0(SALU_CYCLE_1)
	s_or_b32 exec_lo, exec_lo, s92
.LBB1_3037:                             ;   in Loop: Header=BB1_2 Depth=1
	s_delay_alu instid0(SALU_CYCLE_1)
	s_or_b32 exec_lo, exec_lo, s91
.LBB1_3038:                             ;   in Loop: Header=BB1_2 Depth=1
	s_delay_alu instid0(SALU_CYCLE_1)
	s_or_b32 exec_lo, exec_lo, s90
.LBB1_3039:                             ;   in Loop: Header=BB1_2 Depth=1
	s_delay_alu instid0(SALU_CYCLE_1)
	s_or_b32 exec_lo, exec_lo, s89
.LBB1_3040:                             ;   in Loop: Header=BB1_2 Depth=1
	s_delay_alu instid0(SALU_CYCLE_1)
	s_or_b32 exec_lo, exec_lo, s88
.LBB1_3041:                             ;   in Loop: Header=BB1_2 Depth=1
	s_delay_alu instid0(SALU_CYCLE_1)
	s_or_b32 exec_lo, exec_lo, s87
.LBB1_3042:                             ;   in Loop: Header=BB1_2 Depth=1
	s_delay_alu instid0(SALU_CYCLE_1)
	s_or_b32 exec_lo, exec_lo, s86
.LBB1_3043:                             ;   in Loop: Header=BB1_2 Depth=1
	s_delay_alu instid0(SALU_CYCLE_1)
	s_or_b32 exec_lo, exec_lo, s85
.LBB1_3044:                             ;   in Loop: Header=BB1_2 Depth=1
	s_delay_alu instid0(SALU_CYCLE_1)
	s_or_b32 exec_lo, exec_lo, s84
.LBB1_3045:                             ;   in Loop: Header=BB1_2 Depth=1
	s_delay_alu instid0(SALU_CYCLE_1)
	s_or_b32 exec_lo, exec_lo, s83
.LBB1_3046:                             ;   in Loop: Header=BB1_2 Depth=1
	s_delay_alu instid0(SALU_CYCLE_1)
	s_or_b32 exec_lo, exec_lo, s82
.LBB1_3047:                             ;   in Loop: Header=BB1_2 Depth=1
	s_delay_alu instid0(SALU_CYCLE_1)
	s_or_b32 exec_lo, exec_lo, s81
.LBB1_3048:                             ;   in Loop: Header=BB1_2 Depth=1
	s_delay_alu instid0(SALU_CYCLE_1)
	s_or_b32 exec_lo, exec_lo, s80
.LBB1_3049:                             ;   in Loop: Header=BB1_2 Depth=1
	s_delay_alu instid0(SALU_CYCLE_1)
	s_or_b32 exec_lo, exec_lo, s79
.LBB1_3050:                             ;   in Loop: Header=BB1_2 Depth=1
	s_delay_alu instid0(SALU_CYCLE_1)
	s_or_b32 exec_lo, exec_lo, s78
.LBB1_3051:                             ;   in Loop: Header=BB1_2 Depth=1
	s_delay_alu instid0(SALU_CYCLE_1)
	s_or_b32 exec_lo, exec_lo, s77
.LBB1_3052:                             ;   in Loop: Header=BB1_2 Depth=1
	s_delay_alu instid0(SALU_CYCLE_1)
	s_or_b32 exec_lo, exec_lo, s76
.LBB1_3053:                             ;   in Loop: Header=BB1_2 Depth=1
	s_delay_alu instid0(SALU_CYCLE_1)
	s_or_b32 exec_lo, exec_lo, s75
.LBB1_3054:                             ;   in Loop: Header=BB1_2 Depth=1
	s_delay_alu instid0(SALU_CYCLE_1)
	s_or_b32 exec_lo, exec_lo, s74
.LBB1_3055:                             ;   in Loop: Header=BB1_2 Depth=1
	s_delay_alu instid0(SALU_CYCLE_1)
	s_or_b32 exec_lo, exec_lo, s73
.LBB1_3056:                             ;   in Loop: Header=BB1_2 Depth=1
	s_delay_alu instid0(SALU_CYCLE_1)
	s_or_b32 exec_lo, exec_lo, s72
.LBB1_3057:                             ;   in Loop: Header=BB1_2 Depth=1
	s_delay_alu instid0(SALU_CYCLE_1)
	s_or_b32 exec_lo, exec_lo, s35
.LBB1_3058:                             ;   in Loop: Header=BB1_2 Depth=1
	s_delay_alu instid0(SALU_CYCLE_1)
	s_or_b32 exec_lo, exec_lo, s34
.LBB1_3059:                             ;   in Loop: Header=BB1_2 Depth=1
	s_delay_alu instid0(SALU_CYCLE_1)
	s_or_b32 exec_lo, exec_lo, s33
.LBB1_3060:                             ;   in Loop: Header=BB1_2 Depth=1
	s_delay_alu instid0(SALU_CYCLE_1)
	s_or_b32 exec_lo, exec_lo, s31
	v_mov_b32_e32 v0, s1
	s_mov_b32 s31, exec_lo
	ds_load_2addr_b64 v[10:13], v0 offset0:87 offset1:88
	ds_load_b64 v[14:15], v0 offset:712
	s_wait_dscnt 0x1
	v_mul_f64_e32 v[0:1], v[4:5], v[12:13]
	s_delay_alu instid0(VALU_DEP_1) | instskip(SKIP_1) | instid1(VALU_DEP_1)
	v_fmac_f64_e32 v[0:1], v[2:3], v[10:11]
	s_wait_dscnt 0x0
	v_fmac_f64_e32 v[0:1], v[6:7], v[14:15]
	s_delay_alu instid0(VALU_DEP_1)
	v_cmpx_ngt_f64_e32 s[28:29], v[0:1]
	s_xor_b32 s31, exec_lo, s31
	s_cbranch_execz .LBB1_3180
; %bb.3061:                             ;   in Loop: Header=BB1_2 Depth=1
	s_mov_b32 s33, exec_lo
	v_cmpx_ngt_f64_e32 s[70:71], v[0:1]
	s_xor_b32 s33, exec_lo, s33
	s_cbranch_execz .LBB1_3177
; %bb.3062:                             ;   in Loop: Header=BB1_2 Depth=1
	s_mov_b32 s34, exec_lo
	;; [unrolled: 5-line block ×30, first 2 shown]
	v_cmpx_gt_f64_e32 s[52:53], v[0:1]
; %bb.3091:                             ;   in Loop: Header=BB1_2 Depth=1
	v_or_b32_e32 v9, 0x400, v9
; %bb.3092:                             ;   in Loop: Header=BB1_2 Depth=1
	s_or_b32 exec_lo, exec_lo, s98
.LBB1_3093:                             ;   in Loop: Header=BB1_2 Depth=1
	s_and_not1_saveexec_b32 s97, s97
; %bb.3094:                             ;   in Loop: Header=BB1_2 Depth=1
	s_delay_alu instid0(VALU_DEP_1)
	v_or_b32_e32 v9, 0x800, v9
; %bb.3095:                             ;   in Loop: Header=BB1_2 Depth=1
	s_or_b32 exec_lo, exec_lo, s97
.LBB1_3096:                             ;   in Loop: Header=BB1_2 Depth=1
	s_and_not1_saveexec_b32 s96, s96
; %bb.3097:                             ;   in Loop: Header=BB1_2 Depth=1
	s_delay_alu instid0(VALU_DEP_1)
	v_or_b32_e32 v9, 0xc00, v9
; %bb.3098:                             ;   in Loop: Header=BB1_2 Depth=1
	s_or_b32 exec_lo, exec_lo, s96
.LBB1_3099:                             ;   in Loop: Header=BB1_2 Depth=1
	s_and_not1_saveexec_b32 s95, s95
; %bb.3100:                             ;   in Loop: Header=BB1_2 Depth=1
	s_delay_alu instid0(VALU_DEP_1)
	v_or_b32_e32 v9, 0x1000, v9
; %bb.3101:                             ;   in Loop: Header=BB1_2 Depth=1
	s_or_b32 exec_lo, exec_lo, s95
.LBB1_3102:                             ;   in Loop: Header=BB1_2 Depth=1
	s_and_not1_saveexec_b32 s94, s94
; %bb.3103:                             ;   in Loop: Header=BB1_2 Depth=1
	s_delay_alu instid0(VALU_DEP_1)
	v_or_b32_e32 v9, 0x1400, v9
; %bb.3104:                             ;   in Loop: Header=BB1_2 Depth=1
	s_or_b32 exec_lo, exec_lo, s94
.LBB1_3105:                             ;   in Loop: Header=BB1_2 Depth=1
	s_and_not1_saveexec_b32 s93, s93
; %bb.3106:                             ;   in Loop: Header=BB1_2 Depth=1
	s_delay_alu instid0(VALU_DEP_1)
	v_or_b32_e32 v9, 0x1800, v9
; %bb.3107:                             ;   in Loop: Header=BB1_2 Depth=1
	s_or_b32 exec_lo, exec_lo, s93
.LBB1_3108:                             ;   in Loop: Header=BB1_2 Depth=1
	s_and_not1_saveexec_b32 s92, s92
; %bb.3109:                             ;   in Loop: Header=BB1_2 Depth=1
	s_delay_alu instid0(VALU_DEP_1)
	v_or_b32_e32 v9, 0x1c00, v9
; %bb.3110:                             ;   in Loop: Header=BB1_2 Depth=1
	s_or_b32 exec_lo, exec_lo, s92
.LBB1_3111:                             ;   in Loop: Header=BB1_2 Depth=1
	s_and_not1_saveexec_b32 s91, s91
; %bb.3112:                             ;   in Loop: Header=BB1_2 Depth=1
	s_delay_alu instid0(VALU_DEP_1)
	v_or_b32_e32 v9, 0x2000, v9
; %bb.3113:                             ;   in Loop: Header=BB1_2 Depth=1
	s_or_b32 exec_lo, exec_lo, s91
.LBB1_3114:                             ;   in Loop: Header=BB1_2 Depth=1
	s_and_not1_saveexec_b32 s90, s90
; %bb.3115:                             ;   in Loop: Header=BB1_2 Depth=1
	s_delay_alu instid0(VALU_DEP_1)
	v_or_b32_e32 v9, 0x2400, v9
; %bb.3116:                             ;   in Loop: Header=BB1_2 Depth=1
	s_or_b32 exec_lo, exec_lo, s90
.LBB1_3117:                             ;   in Loop: Header=BB1_2 Depth=1
	s_and_not1_saveexec_b32 s89, s89
; %bb.3118:                             ;   in Loop: Header=BB1_2 Depth=1
	s_delay_alu instid0(VALU_DEP_1)
	v_or_b32_e32 v9, 0x2800, v9
; %bb.3119:                             ;   in Loop: Header=BB1_2 Depth=1
	s_or_b32 exec_lo, exec_lo, s89
.LBB1_3120:                             ;   in Loop: Header=BB1_2 Depth=1
	s_and_not1_saveexec_b32 s88, s88
; %bb.3121:                             ;   in Loop: Header=BB1_2 Depth=1
	s_delay_alu instid0(VALU_DEP_1)
	v_or_b32_e32 v9, 0x2c00, v9
; %bb.3122:                             ;   in Loop: Header=BB1_2 Depth=1
	s_or_b32 exec_lo, exec_lo, s88
.LBB1_3123:                             ;   in Loop: Header=BB1_2 Depth=1
	s_and_not1_saveexec_b32 s87, s87
; %bb.3124:                             ;   in Loop: Header=BB1_2 Depth=1
	s_delay_alu instid0(VALU_DEP_1)
	v_or_b32_e32 v9, 0x3000, v9
; %bb.3125:                             ;   in Loop: Header=BB1_2 Depth=1
	s_or_b32 exec_lo, exec_lo, s87
.LBB1_3126:                             ;   in Loop: Header=BB1_2 Depth=1
	s_and_not1_saveexec_b32 s86, s86
; %bb.3127:                             ;   in Loop: Header=BB1_2 Depth=1
	s_delay_alu instid0(VALU_DEP_1)
	v_or_b32_e32 v9, 0x3400, v9
; %bb.3128:                             ;   in Loop: Header=BB1_2 Depth=1
	s_or_b32 exec_lo, exec_lo, s86
.LBB1_3129:                             ;   in Loop: Header=BB1_2 Depth=1
	s_and_not1_saveexec_b32 s85, s85
; %bb.3130:                             ;   in Loop: Header=BB1_2 Depth=1
	s_delay_alu instid0(VALU_DEP_1)
	v_or_b32_e32 v9, 0x3800, v9
; %bb.3131:                             ;   in Loop: Header=BB1_2 Depth=1
	s_or_b32 exec_lo, exec_lo, s85
.LBB1_3132:                             ;   in Loop: Header=BB1_2 Depth=1
	s_and_not1_saveexec_b32 s84, s84
; %bb.3133:                             ;   in Loop: Header=BB1_2 Depth=1
	s_delay_alu instid0(VALU_DEP_1)
	v_or_b32_e32 v9, 0x3c00, v9
; %bb.3134:                             ;   in Loop: Header=BB1_2 Depth=1
	s_or_b32 exec_lo, exec_lo, s84
.LBB1_3135:                             ;   in Loop: Header=BB1_2 Depth=1
	s_and_not1_saveexec_b32 s83, s83
; %bb.3136:                             ;   in Loop: Header=BB1_2 Depth=1
	s_delay_alu instid0(VALU_DEP_1)
	v_or_b32_e32 v9, 0x4000, v9
; %bb.3137:                             ;   in Loop: Header=BB1_2 Depth=1
	s_or_b32 exec_lo, exec_lo, s83
.LBB1_3138:                             ;   in Loop: Header=BB1_2 Depth=1
	s_and_not1_saveexec_b32 s82, s82
; %bb.3139:                             ;   in Loop: Header=BB1_2 Depth=1
	s_delay_alu instid0(VALU_DEP_1)
	v_or_b32_e32 v9, 0x4400, v9
; %bb.3140:                             ;   in Loop: Header=BB1_2 Depth=1
	s_or_b32 exec_lo, exec_lo, s82
.LBB1_3141:                             ;   in Loop: Header=BB1_2 Depth=1
	s_and_not1_saveexec_b32 s81, s81
; %bb.3142:                             ;   in Loop: Header=BB1_2 Depth=1
	s_delay_alu instid0(VALU_DEP_1)
	v_or_b32_e32 v9, 0x4800, v9
; %bb.3143:                             ;   in Loop: Header=BB1_2 Depth=1
	s_or_b32 exec_lo, exec_lo, s81
.LBB1_3144:                             ;   in Loop: Header=BB1_2 Depth=1
	s_and_not1_saveexec_b32 s80, s80
; %bb.3145:                             ;   in Loop: Header=BB1_2 Depth=1
	s_delay_alu instid0(VALU_DEP_1)
	v_or_b32_e32 v9, 0x4c00, v9
; %bb.3146:                             ;   in Loop: Header=BB1_2 Depth=1
	s_or_b32 exec_lo, exec_lo, s80
.LBB1_3147:                             ;   in Loop: Header=BB1_2 Depth=1
	s_and_not1_saveexec_b32 s79, s79
; %bb.3148:                             ;   in Loop: Header=BB1_2 Depth=1
	s_delay_alu instid0(VALU_DEP_1)
	v_or_b32_e32 v9, 0x5000, v9
; %bb.3149:                             ;   in Loop: Header=BB1_2 Depth=1
	s_or_b32 exec_lo, exec_lo, s79
.LBB1_3150:                             ;   in Loop: Header=BB1_2 Depth=1
	s_and_not1_saveexec_b32 s78, s78
; %bb.3151:                             ;   in Loop: Header=BB1_2 Depth=1
	s_delay_alu instid0(VALU_DEP_1)
	v_or_b32_e32 v9, 0x5400, v9
; %bb.3152:                             ;   in Loop: Header=BB1_2 Depth=1
	s_or_b32 exec_lo, exec_lo, s78
.LBB1_3153:                             ;   in Loop: Header=BB1_2 Depth=1
	s_and_not1_saveexec_b32 s77, s77
; %bb.3154:                             ;   in Loop: Header=BB1_2 Depth=1
	s_delay_alu instid0(VALU_DEP_1)
	v_or_b32_e32 v9, 0x5800, v9
; %bb.3155:                             ;   in Loop: Header=BB1_2 Depth=1
	s_or_b32 exec_lo, exec_lo, s77
.LBB1_3156:                             ;   in Loop: Header=BB1_2 Depth=1
	s_and_not1_saveexec_b32 s76, s76
; %bb.3157:                             ;   in Loop: Header=BB1_2 Depth=1
	s_delay_alu instid0(VALU_DEP_1)
	v_or_b32_e32 v9, 0x5c00, v9
; %bb.3158:                             ;   in Loop: Header=BB1_2 Depth=1
	s_or_b32 exec_lo, exec_lo, s76
.LBB1_3159:                             ;   in Loop: Header=BB1_2 Depth=1
	s_and_not1_saveexec_b32 s75, s75
; %bb.3160:                             ;   in Loop: Header=BB1_2 Depth=1
	s_delay_alu instid0(VALU_DEP_1)
	v_or_b32_e32 v9, 0x6000, v9
; %bb.3161:                             ;   in Loop: Header=BB1_2 Depth=1
	s_or_b32 exec_lo, exec_lo, s75
.LBB1_3162:                             ;   in Loop: Header=BB1_2 Depth=1
	s_and_not1_saveexec_b32 s74, s74
; %bb.3163:                             ;   in Loop: Header=BB1_2 Depth=1
	s_delay_alu instid0(VALU_DEP_1)
	v_or_b32_e32 v9, 0x6400, v9
; %bb.3164:                             ;   in Loop: Header=BB1_2 Depth=1
	s_or_b32 exec_lo, exec_lo, s74
.LBB1_3165:                             ;   in Loop: Header=BB1_2 Depth=1
	s_and_not1_saveexec_b32 s73, s73
; %bb.3166:                             ;   in Loop: Header=BB1_2 Depth=1
	s_delay_alu instid0(VALU_DEP_1)
	v_or_b32_e32 v9, 0x6800, v9
; %bb.3167:                             ;   in Loop: Header=BB1_2 Depth=1
	s_or_b32 exec_lo, exec_lo, s73
.LBB1_3168:                             ;   in Loop: Header=BB1_2 Depth=1
	s_and_not1_saveexec_b32 s72, s72
; %bb.3169:                             ;   in Loop: Header=BB1_2 Depth=1
	s_delay_alu instid0(VALU_DEP_1)
	v_or_b32_e32 v9, 0x6c00, v9
; %bb.3170:                             ;   in Loop: Header=BB1_2 Depth=1
	s_or_b32 exec_lo, exec_lo, s72
.LBB1_3171:                             ;   in Loop: Header=BB1_2 Depth=1
	s_and_not1_saveexec_b32 s35, s35
; %bb.3172:                             ;   in Loop: Header=BB1_2 Depth=1
	s_delay_alu instid0(VALU_DEP_1)
	v_or_b32_e32 v9, 0x7000, v9
; %bb.3173:                             ;   in Loop: Header=BB1_2 Depth=1
	s_or_b32 exec_lo, exec_lo, s35
.LBB1_3174:                             ;   in Loop: Header=BB1_2 Depth=1
	s_and_not1_saveexec_b32 s34, s34
; %bb.3175:                             ;   in Loop: Header=BB1_2 Depth=1
	s_delay_alu instid0(VALU_DEP_1)
	v_or_b32_e32 v9, 0x7400, v9
; %bb.3176:                             ;   in Loop: Header=BB1_2 Depth=1
	s_or_b32 exec_lo, exec_lo, s34
.LBB1_3177:                             ;   in Loop: Header=BB1_2 Depth=1
	s_and_not1_saveexec_b32 s33, s33
; %bb.3178:                             ;   in Loop: Header=BB1_2 Depth=1
	s_delay_alu instid0(VALU_DEP_1)
	v_or_b32_e32 v9, 0x7800, v9
; %bb.3179:                             ;   in Loop: Header=BB1_2 Depth=1
	s_or_b32 exec_lo, exec_lo, s33
.LBB1_3180:                             ;   in Loop: Header=BB1_2 Depth=1
	s_and_not1_saveexec_b32 s31, s31
; %bb.3181:                             ;   in Loop: Header=BB1_2 Depth=1
	s_delay_alu instid0(VALU_DEP_1)
	v_or_b32_e32 v9, 0x7c00, v9
; %bb.3182:                             ;   in Loop: Header=BB1_2 Depth=1
	s_or_b32 exec_lo, exec_lo, s31
	v_mov_b32_e32 v0, s1
	s_mov_b32 s31, exec_lo
	ds_load_2addr_b64 v[10:13], v0 offset0:90 offset1:91
	ds_load_b64 v[14:15], v0 offset:736
	s_wait_dscnt 0x1
	v_mul_f64_e32 v[0:1], v[4:5], v[12:13]
	s_delay_alu instid0(VALU_DEP_1) | instskip(SKIP_1) | instid1(VALU_DEP_1)
	v_fmac_f64_e32 v[0:1], v[2:3], v[10:11]
	s_wait_dscnt 0x0
	v_fmac_f64_e32 v[0:1], v[6:7], v[14:15]
	s_delay_alu instid0(VALU_DEP_1)
	v_cmpx_ngt_f64_e32 s[28:29], v[0:1]
	s_xor_b32 s31, exec_lo, s31
	s_cbranch_execz .LBB1_3302
; %bb.3183:                             ;   in Loop: Header=BB1_2 Depth=1
	s_mov_b32 s33, exec_lo
	v_cmpx_ngt_f64_e32 s[70:71], v[0:1]
	s_xor_b32 s33, exec_lo, s33
	s_cbranch_execz .LBB1_3299
; %bb.3184:                             ;   in Loop: Header=BB1_2 Depth=1
	s_mov_b32 s34, exec_lo
	;; [unrolled: 5-line block ×30, first 2 shown]
	v_cmpx_gt_f64_e32 s[52:53], v[0:1]
; %bb.3213:                             ;   in Loop: Header=BB1_2 Depth=1
	v_add_nc_u32_e32 v9, 0x40000, v9
; %bb.3214:                             ;   in Loop: Header=BB1_2 Depth=1
	s_or_b32 exec_lo, exec_lo, s98
.LBB1_3215:                             ;   in Loop: Header=BB1_2 Depth=1
	s_and_not1_saveexec_b32 s97, s97
; %bb.3216:                             ;   in Loop: Header=BB1_2 Depth=1
	s_delay_alu instid0(VALU_DEP_1)
	v_add_nc_u32_e32 v9, 0x80000, v9
; %bb.3217:                             ;   in Loop: Header=BB1_2 Depth=1
	s_or_b32 exec_lo, exec_lo, s97
.LBB1_3218:                             ;   in Loop: Header=BB1_2 Depth=1
	s_and_not1_saveexec_b32 s96, s96
; %bb.3219:                             ;   in Loop: Header=BB1_2 Depth=1
	s_delay_alu instid0(VALU_DEP_1)
	v_add_nc_u32_e32 v9, 0xc0000, v9
; %bb.3220:                             ;   in Loop: Header=BB1_2 Depth=1
	s_or_b32 exec_lo, exec_lo, s96
.LBB1_3221:                             ;   in Loop: Header=BB1_2 Depth=1
	s_and_not1_saveexec_b32 s95, s95
; %bb.3222:                             ;   in Loop: Header=BB1_2 Depth=1
	s_delay_alu instid0(VALU_DEP_1)
	v_add_nc_u32_e32 v9, 0x100000, v9
; %bb.3223:                             ;   in Loop: Header=BB1_2 Depth=1
	s_or_b32 exec_lo, exec_lo, s95
.LBB1_3224:                             ;   in Loop: Header=BB1_2 Depth=1
	s_and_not1_saveexec_b32 s94, s94
; %bb.3225:                             ;   in Loop: Header=BB1_2 Depth=1
	s_delay_alu instid0(VALU_DEP_1)
	v_add_nc_u32_e32 v9, 0x140000, v9
; %bb.3226:                             ;   in Loop: Header=BB1_2 Depth=1
	s_or_b32 exec_lo, exec_lo, s94
.LBB1_3227:                             ;   in Loop: Header=BB1_2 Depth=1
	s_and_not1_saveexec_b32 s93, s93
; %bb.3228:                             ;   in Loop: Header=BB1_2 Depth=1
	s_delay_alu instid0(VALU_DEP_1)
	v_add_nc_u32_e32 v9, 0x180000, v9
; %bb.3229:                             ;   in Loop: Header=BB1_2 Depth=1
	s_or_b32 exec_lo, exec_lo, s93
.LBB1_3230:                             ;   in Loop: Header=BB1_2 Depth=1
	s_and_not1_saveexec_b32 s92, s92
; %bb.3231:                             ;   in Loop: Header=BB1_2 Depth=1
	s_delay_alu instid0(VALU_DEP_1)
	v_add_nc_u32_e32 v9, 0x1c0000, v9
; %bb.3232:                             ;   in Loop: Header=BB1_2 Depth=1
	s_or_b32 exec_lo, exec_lo, s92
.LBB1_3233:                             ;   in Loop: Header=BB1_2 Depth=1
	s_and_not1_saveexec_b32 s91, s91
; %bb.3234:                             ;   in Loop: Header=BB1_2 Depth=1
	s_delay_alu instid0(VALU_DEP_1)
	v_add_nc_u32_e32 v9, 0x200000, v9
; %bb.3235:                             ;   in Loop: Header=BB1_2 Depth=1
	s_or_b32 exec_lo, exec_lo, s91
.LBB1_3236:                             ;   in Loop: Header=BB1_2 Depth=1
	s_and_not1_saveexec_b32 s90, s90
; %bb.3237:                             ;   in Loop: Header=BB1_2 Depth=1
	s_delay_alu instid0(VALU_DEP_1)
	v_add_nc_u32_e32 v9, 0x240000, v9
; %bb.3238:                             ;   in Loop: Header=BB1_2 Depth=1
	s_or_b32 exec_lo, exec_lo, s90
.LBB1_3239:                             ;   in Loop: Header=BB1_2 Depth=1
	s_and_not1_saveexec_b32 s89, s89
; %bb.3240:                             ;   in Loop: Header=BB1_2 Depth=1
	s_delay_alu instid0(VALU_DEP_1)
	v_add_nc_u32_e32 v9, 0x280000, v9
; %bb.3241:                             ;   in Loop: Header=BB1_2 Depth=1
	s_or_b32 exec_lo, exec_lo, s89
.LBB1_3242:                             ;   in Loop: Header=BB1_2 Depth=1
	s_and_not1_saveexec_b32 s88, s88
; %bb.3243:                             ;   in Loop: Header=BB1_2 Depth=1
	s_delay_alu instid0(VALU_DEP_1)
	v_add_nc_u32_e32 v9, 0x2c0000, v9
; %bb.3244:                             ;   in Loop: Header=BB1_2 Depth=1
	s_or_b32 exec_lo, exec_lo, s88
.LBB1_3245:                             ;   in Loop: Header=BB1_2 Depth=1
	s_and_not1_saveexec_b32 s87, s87
; %bb.3246:                             ;   in Loop: Header=BB1_2 Depth=1
	s_delay_alu instid0(VALU_DEP_1)
	v_add_nc_u32_e32 v9, 0x300000, v9
; %bb.3247:                             ;   in Loop: Header=BB1_2 Depth=1
	s_or_b32 exec_lo, exec_lo, s87
.LBB1_3248:                             ;   in Loop: Header=BB1_2 Depth=1
	s_and_not1_saveexec_b32 s86, s86
; %bb.3249:                             ;   in Loop: Header=BB1_2 Depth=1
	s_delay_alu instid0(VALU_DEP_1)
	v_add_nc_u32_e32 v9, 0x340000, v9
; %bb.3250:                             ;   in Loop: Header=BB1_2 Depth=1
	s_or_b32 exec_lo, exec_lo, s86
.LBB1_3251:                             ;   in Loop: Header=BB1_2 Depth=1
	s_and_not1_saveexec_b32 s85, s85
; %bb.3252:                             ;   in Loop: Header=BB1_2 Depth=1
	s_delay_alu instid0(VALU_DEP_1)
	v_add_nc_u32_e32 v9, 0x380000, v9
; %bb.3253:                             ;   in Loop: Header=BB1_2 Depth=1
	s_or_b32 exec_lo, exec_lo, s85
.LBB1_3254:                             ;   in Loop: Header=BB1_2 Depth=1
	s_and_not1_saveexec_b32 s84, s84
; %bb.3255:                             ;   in Loop: Header=BB1_2 Depth=1
	s_delay_alu instid0(VALU_DEP_1)
	v_add_nc_u32_e32 v9, 0x3c0000, v9
; %bb.3256:                             ;   in Loop: Header=BB1_2 Depth=1
	s_or_b32 exec_lo, exec_lo, s84
.LBB1_3257:                             ;   in Loop: Header=BB1_2 Depth=1
	s_and_not1_saveexec_b32 s83, s83
; %bb.3258:                             ;   in Loop: Header=BB1_2 Depth=1
	s_delay_alu instid0(VALU_DEP_1)
	v_add_nc_u32_e32 v9, 0x400000, v9
; %bb.3259:                             ;   in Loop: Header=BB1_2 Depth=1
	s_or_b32 exec_lo, exec_lo, s83
.LBB1_3260:                             ;   in Loop: Header=BB1_2 Depth=1
	s_and_not1_saveexec_b32 s82, s82
; %bb.3261:                             ;   in Loop: Header=BB1_2 Depth=1
	s_delay_alu instid0(VALU_DEP_1)
	v_add_nc_u32_e32 v9, 0x440000, v9
; %bb.3262:                             ;   in Loop: Header=BB1_2 Depth=1
	s_or_b32 exec_lo, exec_lo, s82
.LBB1_3263:                             ;   in Loop: Header=BB1_2 Depth=1
	s_and_not1_saveexec_b32 s81, s81
; %bb.3264:                             ;   in Loop: Header=BB1_2 Depth=1
	s_delay_alu instid0(VALU_DEP_1)
	v_add_nc_u32_e32 v9, 0x480000, v9
; %bb.3265:                             ;   in Loop: Header=BB1_2 Depth=1
	s_or_b32 exec_lo, exec_lo, s81
.LBB1_3266:                             ;   in Loop: Header=BB1_2 Depth=1
	s_and_not1_saveexec_b32 s80, s80
; %bb.3267:                             ;   in Loop: Header=BB1_2 Depth=1
	s_delay_alu instid0(VALU_DEP_1)
	v_add_nc_u32_e32 v9, 0x4c0000, v9
; %bb.3268:                             ;   in Loop: Header=BB1_2 Depth=1
	s_or_b32 exec_lo, exec_lo, s80
.LBB1_3269:                             ;   in Loop: Header=BB1_2 Depth=1
	s_and_not1_saveexec_b32 s79, s79
; %bb.3270:                             ;   in Loop: Header=BB1_2 Depth=1
	s_delay_alu instid0(VALU_DEP_1)
	v_add_nc_u32_e32 v9, 0x500000, v9
; %bb.3271:                             ;   in Loop: Header=BB1_2 Depth=1
	s_or_b32 exec_lo, exec_lo, s79
.LBB1_3272:                             ;   in Loop: Header=BB1_2 Depth=1
	s_and_not1_saveexec_b32 s78, s78
; %bb.3273:                             ;   in Loop: Header=BB1_2 Depth=1
	s_delay_alu instid0(VALU_DEP_1)
	v_add_nc_u32_e32 v9, 0x540000, v9
; %bb.3274:                             ;   in Loop: Header=BB1_2 Depth=1
	s_or_b32 exec_lo, exec_lo, s78
.LBB1_3275:                             ;   in Loop: Header=BB1_2 Depth=1
	s_and_not1_saveexec_b32 s77, s77
; %bb.3276:                             ;   in Loop: Header=BB1_2 Depth=1
	s_delay_alu instid0(VALU_DEP_1)
	v_add_nc_u32_e32 v9, 0x580000, v9
; %bb.3277:                             ;   in Loop: Header=BB1_2 Depth=1
	s_or_b32 exec_lo, exec_lo, s77
.LBB1_3278:                             ;   in Loop: Header=BB1_2 Depth=1
	s_and_not1_saveexec_b32 s76, s76
; %bb.3279:                             ;   in Loop: Header=BB1_2 Depth=1
	s_delay_alu instid0(VALU_DEP_1)
	v_add_nc_u32_e32 v9, 0x5c0000, v9
; %bb.3280:                             ;   in Loop: Header=BB1_2 Depth=1
	s_or_b32 exec_lo, exec_lo, s76
.LBB1_3281:                             ;   in Loop: Header=BB1_2 Depth=1
	s_and_not1_saveexec_b32 s75, s75
; %bb.3282:                             ;   in Loop: Header=BB1_2 Depth=1
	s_delay_alu instid0(VALU_DEP_1)
	v_add_nc_u32_e32 v9, 0x600000, v9
; %bb.3283:                             ;   in Loop: Header=BB1_2 Depth=1
	s_or_b32 exec_lo, exec_lo, s75
.LBB1_3284:                             ;   in Loop: Header=BB1_2 Depth=1
	s_and_not1_saveexec_b32 s74, s74
; %bb.3285:                             ;   in Loop: Header=BB1_2 Depth=1
	s_delay_alu instid0(VALU_DEP_1)
	v_add_nc_u32_e32 v9, 0x640000, v9
; %bb.3286:                             ;   in Loop: Header=BB1_2 Depth=1
	s_or_b32 exec_lo, exec_lo, s74
.LBB1_3287:                             ;   in Loop: Header=BB1_2 Depth=1
	s_and_not1_saveexec_b32 s73, s73
; %bb.3288:                             ;   in Loop: Header=BB1_2 Depth=1
	s_delay_alu instid0(VALU_DEP_1)
	v_add_nc_u32_e32 v9, 0x680000, v9
; %bb.3289:                             ;   in Loop: Header=BB1_2 Depth=1
	s_or_b32 exec_lo, exec_lo, s73
.LBB1_3290:                             ;   in Loop: Header=BB1_2 Depth=1
	s_and_not1_saveexec_b32 s72, s72
; %bb.3291:                             ;   in Loop: Header=BB1_2 Depth=1
	s_delay_alu instid0(VALU_DEP_1)
	v_add_nc_u32_e32 v9, 0x6c0000, v9
; %bb.3292:                             ;   in Loop: Header=BB1_2 Depth=1
	s_or_b32 exec_lo, exec_lo, s72
.LBB1_3293:                             ;   in Loop: Header=BB1_2 Depth=1
	s_and_not1_saveexec_b32 s35, s35
; %bb.3294:                             ;   in Loop: Header=BB1_2 Depth=1
	s_delay_alu instid0(VALU_DEP_1)
	v_add_nc_u32_e32 v9, 0x700000, v9
; %bb.3295:                             ;   in Loop: Header=BB1_2 Depth=1
	s_or_b32 exec_lo, exec_lo, s35
.LBB1_3296:                             ;   in Loop: Header=BB1_2 Depth=1
	s_and_not1_saveexec_b32 s34, s34
; %bb.3297:                             ;   in Loop: Header=BB1_2 Depth=1
	s_delay_alu instid0(VALU_DEP_1)
	v_add_nc_u32_e32 v9, 0x740000, v9
; %bb.3298:                             ;   in Loop: Header=BB1_2 Depth=1
	s_or_b32 exec_lo, exec_lo, s34
.LBB1_3299:                             ;   in Loop: Header=BB1_2 Depth=1
	s_and_not1_saveexec_b32 s33, s33
; %bb.3300:                             ;   in Loop: Header=BB1_2 Depth=1
	s_delay_alu instid0(VALU_DEP_1)
	v_add_nc_u32_e32 v9, 0x780000, v9
; %bb.3301:                             ;   in Loop: Header=BB1_2 Depth=1
	s_or_b32 exec_lo, exec_lo, s33
.LBB1_3302:                             ;   in Loop: Header=BB1_2 Depth=1
	s_and_not1_saveexec_b32 s31, s31
; %bb.3303:                             ;   in Loop: Header=BB1_2 Depth=1
	s_delay_alu instid0(VALU_DEP_1)
	v_add_nc_u32_e32 v9, 0x7c0000, v9
; %bb.3304:                             ;   in Loop: Header=BB1_2 Depth=1
	s_or_b32 exec_lo, exec_lo, s31
	v_mov_b32_e32 v0, s1
	s_mov_b32 s31, exec_lo
	ds_load_2addr_b64 v[10:13], v0 offset0:93 offset1:94
	ds_load_b64 v[14:15], v0 offset:760
	s_wait_dscnt 0x1
	v_mul_f64_e32 v[0:1], v[4:5], v[12:13]
	s_delay_alu instid0(VALU_DEP_1) | instskip(SKIP_1) | instid1(VALU_DEP_1)
	v_fmac_f64_e32 v[0:1], v[2:3], v[10:11]
	s_wait_dscnt 0x0
	v_fmac_f64_e32 v[0:1], v[6:7], v[14:15]
	s_delay_alu instid0(VALU_DEP_1)
	v_cmpx_ngt_f64_e32 s[28:29], v[0:1]
	s_xor_b32 s31, exec_lo, s31
	s_cbranch_execz .LBB1_3424
; %bb.3305:                             ;   in Loop: Header=BB1_2 Depth=1
	s_mov_b32 s33, exec_lo
	v_cmpx_ngt_f64_e32 s[70:71], v[0:1]
	s_xor_b32 s33, exec_lo, s33
	s_cbranch_execz .LBB1_3421
; %bb.3306:                             ;   in Loop: Header=BB1_2 Depth=1
	s_mov_b32 s34, exec_lo
	;; [unrolled: 5-line block ×30, first 2 shown]
	v_cmpx_gt_f64_e32 s[52:53], v[0:1]
; %bb.3335:                             ;   in Loop: Header=BB1_2 Depth=1
	v_add_nc_u32_e32 v9, 0x4000000, v9
; %bb.3336:                             ;   in Loop: Header=BB1_2 Depth=1
	s_or_b32 exec_lo, exec_lo, s98
.LBB1_3337:                             ;   in Loop: Header=BB1_2 Depth=1
	s_and_not1_saveexec_b32 s97, s97
; %bb.3338:                             ;   in Loop: Header=BB1_2 Depth=1
	s_delay_alu instid0(VALU_DEP_1)
	v_add_nc_u32_e32 v9, 0x8000000, v9
; %bb.3339:                             ;   in Loop: Header=BB1_2 Depth=1
	s_or_b32 exec_lo, exec_lo, s97
.LBB1_3340:                             ;   in Loop: Header=BB1_2 Depth=1
	s_and_not1_saveexec_b32 s96, s96
; %bb.3341:                             ;   in Loop: Header=BB1_2 Depth=1
	s_delay_alu instid0(VALU_DEP_1)
	v_add_nc_u32_e32 v9, 0xc000000, v9
; %bb.3342:                             ;   in Loop: Header=BB1_2 Depth=1
	s_or_b32 exec_lo, exec_lo, s96
.LBB1_3343:                             ;   in Loop: Header=BB1_2 Depth=1
	s_and_not1_saveexec_b32 s95, s95
; %bb.3344:                             ;   in Loop: Header=BB1_2 Depth=1
	s_delay_alu instid0(VALU_DEP_1)
	v_add_nc_u32_e32 v9, 0x10000000, v9
; %bb.3345:                             ;   in Loop: Header=BB1_2 Depth=1
	s_or_b32 exec_lo, exec_lo, s95
.LBB1_3346:                             ;   in Loop: Header=BB1_2 Depth=1
	s_and_not1_saveexec_b32 s94, s94
; %bb.3347:                             ;   in Loop: Header=BB1_2 Depth=1
	s_delay_alu instid0(VALU_DEP_1)
	v_add_nc_u32_e32 v9, 0x14000000, v9
; %bb.3348:                             ;   in Loop: Header=BB1_2 Depth=1
	s_or_b32 exec_lo, exec_lo, s94
.LBB1_3349:                             ;   in Loop: Header=BB1_2 Depth=1
	s_and_not1_saveexec_b32 s93, s93
; %bb.3350:                             ;   in Loop: Header=BB1_2 Depth=1
	s_delay_alu instid0(VALU_DEP_1)
	v_add_nc_u32_e32 v9, 0x18000000, v9
; %bb.3351:                             ;   in Loop: Header=BB1_2 Depth=1
	s_or_b32 exec_lo, exec_lo, s93
.LBB1_3352:                             ;   in Loop: Header=BB1_2 Depth=1
	s_and_not1_saveexec_b32 s92, s92
; %bb.3353:                             ;   in Loop: Header=BB1_2 Depth=1
	s_delay_alu instid0(VALU_DEP_1)
	v_add_nc_u32_e32 v9, 0x1c000000, v9
; %bb.3354:                             ;   in Loop: Header=BB1_2 Depth=1
	s_or_b32 exec_lo, exec_lo, s92
.LBB1_3355:                             ;   in Loop: Header=BB1_2 Depth=1
	s_and_not1_saveexec_b32 s91, s91
; %bb.3356:                             ;   in Loop: Header=BB1_2 Depth=1
	s_delay_alu instid0(VALU_DEP_1)
	v_add_nc_u32_e32 v9, 0x20000000, v9
; %bb.3357:                             ;   in Loop: Header=BB1_2 Depth=1
	s_or_b32 exec_lo, exec_lo, s91
.LBB1_3358:                             ;   in Loop: Header=BB1_2 Depth=1
	s_and_not1_saveexec_b32 s90, s90
; %bb.3359:                             ;   in Loop: Header=BB1_2 Depth=1
	s_delay_alu instid0(VALU_DEP_1)
	v_add_nc_u32_e32 v9, 0x24000000, v9
; %bb.3360:                             ;   in Loop: Header=BB1_2 Depth=1
	s_or_b32 exec_lo, exec_lo, s90
.LBB1_3361:                             ;   in Loop: Header=BB1_2 Depth=1
	s_and_not1_saveexec_b32 s89, s89
; %bb.3362:                             ;   in Loop: Header=BB1_2 Depth=1
	s_delay_alu instid0(VALU_DEP_1)
	v_add_nc_u32_e32 v9, 0x28000000, v9
; %bb.3363:                             ;   in Loop: Header=BB1_2 Depth=1
	s_or_b32 exec_lo, exec_lo, s89
.LBB1_3364:                             ;   in Loop: Header=BB1_2 Depth=1
	s_and_not1_saveexec_b32 s88, s88
; %bb.3365:                             ;   in Loop: Header=BB1_2 Depth=1
	s_delay_alu instid0(VALU_DEP_1)
	v_add_nc_u32_e32 v9, 0x2c000000, v9
; %bb.3366:                             ;   in Loop: Header=BB1_2 Depth=1
	s_or_b32 exec_lo, exec_lo, s88
.LBB1_3367:                             ;   in Loop: Header=BB1_2 Depth=1
	s_and_not1_saveexec_b32 s87, s87
; %bb.3368:                             ;   in Loop: Header=BB1_2 Depth=1
	s_delay_alu instid0(VALU_DEP_1)
	v_add_nc_u32_e32 v9, 0x30000000, v9
; %bb.3369:                             ;   in Loop: Header=BB1_2 Depth=1
	s_or_b32 exec_lo, exec_lo, s87
.LBB1_3370:                             ;   in Loop: Header=BB1_2 Depth=1
	s_and_not1_saveexec_b32 s86, s86
; %bb.3371:                             ;   in Loop: Header=BB1_2 Depth=1
	s_delay_alu instid0(VALU_DEP_1)
	v_add_nc_u32_e32 v9, 0x34000000, v9
; %bb.3372:                             ;   in Loop: Header=BB1_2 Depth=1
	s_or_b32 exec_lo, exec_lo, s86
.LBB1_3373:                             ;   in Loop: Header=BB1_2 Depth=1
	s_and_not1_saveexec_b32 s85, s85
; %bb.3374:                             ;   in Loop: Header=BB1_2 Depth=1
	s_delay_alu instid0(VALU_DEP_1)
	v_add_nc_u32_e32 v9, 0x38000000, v9
; %bb.3375:                             ;   in Loop: Header=BB1_2 Depth=1
	s_or_b32 exec_lo, exec_lo, s85
.LBB1_3376:                             ;   in Loop: Header=BB1_2 Depth=1
	s_and_not1_saveexec_b32 s84, s84
; %bb.3377:                             ;   in Loop: Header=BB1_2 Depth=1
	s_delay_alu instid0(VALU_DEP_1)
	v_add_nc_u32_e32 v9, 0x3c000000, v9
; %bb.3378:                             ;   in Loop: Header=BB1_2 Depth=1
	s_or_b32 exec_lo, exec_lo, s84
.LBB1_3379:                             ;   in Loop: Header=BB1_2 Depth=1
	s_and_not1_saveexec_b32 s83, s83
; %bb.3380:                             ;   in Loop: Header=BB1_2 Depth=1
	s_delay_alu instid0(VALU_DEP_1)
	v_add_nc_u32_e32 v9, 2.0, v9
; %bb.3381:                             ;   in Loop: Header=BB1_2 Depth=1
	s_or_b32 exec_lo, exec_lo, s83
.LBB1_3382:                             ;   in Loop: Header=BB1_2 Depth=1
	s_and_not1_saveexec_b32 s82, s82
; %bb.3383:                             ;   in Loop: Header=BB1_2 Depth=1
	s_delay_alu instid0(VALU_DEP_1)
	v_add_nc_u32_e32 v9, 0x44000000, v9
; %bb.3384:                             ;   in Loop: Header=BB1_2 Depth=1
	s_or_b32 exec_lo, exec_lo, s82
.LBB1_3385:                             ;   in Loop: Header=BB1_2 Depth=1
	s_and_not1_saveexec_b32 s81, s81
; %bb.3386:                             ;   in Loop: Header=BB1_2 Depth=1
	s_delay_alu instid0(VALU_DEP_1)
	v_add_nc_u32_e32 v9, 0x48000000, v9
; %bb.3387:                             ;   in Loop: Header=BB1_2 Depth=1
	s_or_b32 exec_lo, exec_lo, s81
.LBB1_3388:                             ;   in Loop: Header=BB1_2 Depth=1
	s_and_not1_saveexec_b32 s80, s80
; %bb.3389:                             ;   in Loop: Header=BB1_2 Depth=1
	s_delay_alu instid0(VALU_DEP_1)
	v_add_nc_u32_e32 v9, 0x4c000000, v9
; %bb.3390:                             ;   in Loop: Header=BB1_2 Depth=1
	s_or_b32 exec_lo, exec_lo, s80
.LBB1_3391:                             ;   in Loop: Header=BB1_2 Depth=1
	s_and_not1_saveexec_b32 s79, s79
; %bb.3392:                             ;   in Loop: Header=BB1_2 Depth=1
	s_delay_alu instid0(VALU_DEP_1)
	v_add_nc_u32_e32 v9, 0x50000000, v9
; %bb.3393:                             ;   in Loop: Header=BB1_2 Depth=1
	s_or_b32 exec_lo, exec_lo, s79
.LBB1_3394:                             ;   in Loop: Header=BB1_2 Depth=1
	s_and_not1_saveexec_b32 s78, s78
; %bb.3395:                             ;   in Loop: Header=BB1_2 Depth=1
	s_delay_alu instid0(VALU_DEP_1)
	v_add_nc_u32_e32 v9, 0x54000000, v9
; %bb.3396:                             ;   in Loop: Header=BB1_2 Depth=1
	s_or_b32 exec_lo, exec_lo, s78
.LBB1_3397:                             ;   in Loop: Header=BB1_2 Depth=1
	s_and_not1_saveexec_b32 s77, s77
; %bb.3398:                             ;   in Loop: Header=BB1_2 Depth=1
	s_delay_alu instid0(VALU_DEP_1)
	v_add_nc_u32_e32 v9, 0x58000000, v9
; %bb.3399:                             ;   in Loop: Header=BB1_2 Depth=1
	s_or_b32 exec_lo, exec_lo, s77
.LBB1_3400:                             ;   in Loop: Header=BB1_2 Depth=1
	s_and_not1_saveexec_b32 s76, s76
; %bb.3401:                             ;   in Loop: Header=BB1_2 Depth=1
	s_delay_alu instid0(VALU_DEP_1)
	v_add_nc_u32_e32 v9, 0x5c000000, v9
; %bb.3402:                             ;   in Loop: Header=BB1_2 Depth=1
	s_or_b32 exec_lo, exec_lo, s76
.LBB1_3403:                             ;   in Loop: Header=BB1_2 Depth=1
	s_and_not1_saveexec_b32 s75, s75
; %bb.3404:                             ;   in Loop: Header=BB1_2 Depth=1
	s_delay_alu instid0(VALU_DEP_1)
	v_add_nc_u32_e32 v9, 0x60000000, v9
; %bb.3405:                             ;   in Loop: Header=BB1_2 Depth=1
	s_or_b32 exec_lo, exec_lo, s75
.LBB1_3406:                             ;   in Loop: Header=BB1_2 Depth=1
	s_and_not1_saveexec_b32 s74, s74
; %bb.3407:                             ;   in Loop: Header=BB1_2 Depth=1
	s_delay_alu instid0(VALU_DEP_1)
	v_add_nc_u32_e32 v9, 0x64000000, v9
; %bb.3408:                             ;   in Loop: Header=BB1_2 Depth=1
	s_or_b32 exec_lo, exec_lo, s74
.LBB1_3409:                             ;   in Loop: Header=BB1_2 Depth=1
	s_and_not1_saveexec_b32 s73, s73
; %bb.3410:                             ;   in Loop: Header=BB1_2 Depth=1
	s_delay_alu instid0(VALU_DEP_1)
	v_add_nc_u32_e32 v9, 0x68000000, v9
; %bb.3411:                             ;   in Loop: Header=BB1_2 Depth=1
	s_or_b32 exec_lo, exec_lo, s73
.LBB1_3412:                             ;   in Loop: Header=BB1_2 Depth=1
	s_and_not1_saveexec_b32 s72, s72
; %bb.3413:                             ;   in Loop: Header=BB1_2 Depth=1
	s_delay_alu instid0(VALU_DEP_1)
	v_add_nc_u32_e32 v9, 0x6c000000, v9
; %bb.3414:                             ;   in Loop: Header=BB1_2 Depth=1
	s_or_b32 exec_lo, exec_lo, s72
.LBB1_3415:                             ;   in Loop: Header=BB1_2 Depth=1
	s_and_not1_saveexec_b32 s35, s35
; %bb.3416:                             ;   in Loop: Header=BB1_2 Depth=1
	s_delay_alu instid0(VALU_DEP_1)
	v_add_nc_u32_e32 v9, 0x70000000, v9
; %bb.3417:                             ;   in Loop: Header=BB1_2 Depth=1
	s_or_b32 exec_lo, exec_lo, s35
.LBB1_3418:                             ;   in Loop: Header=BB1_2 Depth=1
	s_and_not1_saveexec_b32 s34, s34
; %bb.3419:                             ;   in Loop: Header=BB1_2 Depth=1
	s_delay_alu instid0(VALU_DEP_1)
	v_add_nc_u32_e32 v9, 0x74000000, v9
; %bb.3420:                             ;   in Loop: Header=BB1_2 Depth=1
	s_or_b32 exec_lo, exec_lo, s34
.LBB1_3421:                             ;   in Loop: Header=BB1_2 Depth=1
	s_and_not1_saveexec_b32 s33, s33
; %bb.3422:                             ;   in Loop: Header=BB1_2 Depth=1
	s_delay_alu instid0(VALU_DEP_1)
	v_add_nc_u32_e32 v9, 0x78000000, v9
; %bb.3423:                             ;   in Loop: Header=BB1_2 Depth=1
	s_or_b32 exec_lo, exec_lo, s33
.LBB1_3424:                             ;   in Loop: Header=BB1_2 Depth=1
	s_and_not1_saveexec_b32 s31, s31
; %bb.3425:                             ;   in Loop: Header=BB1_2 Depth=1
	s_delay_alu instid0(VALU_DEP_1)
	v_add_nc_u32_e32 v9, 0x7c000000, v9
; %bb.3426:                             ;   in Loop: Header=BB1_2 Depth=1
	s_or_b32 exec_lo, exec_lo, s31
	v_mov_b32_e32 v0, s1
	s_mov_b32 s31, exec_lo
	ds_load_2addr_b64 v[10:13], v0 offset0:96 offset1:97
	ds_load_b64 v[14:15], v0 offset:784
	s_wait_dscnt 0x1
	v_mul_f64_e32 v[0:1], v[4:5], v[12:13]
	s_delay_alu instid0(VALU_DEP_1)
	v_fmac_f64_e32 v[0:1], v[2:3], v[10:11]
	v_add3_u32 v11, v8, s30, 0x1c000
	v_mov_b32_e32 v10, 0x7c
	global_store_b32 v11, v9, s[2:3] scale_offset
	s_wait_dscnt 0x0
	v_fmac_f64_e32 v[0:1], v[6:7], v[14:15]
	s_wait_xcnt 0x0
	s_delay_alu instid0(VALU_DEP_1)
	v_cmpx_ngt_f64_e32 s[28:29], v[0:1]
	s_cbranch_execz .LBB1_3488
; %bb.3427:                             ;   in Loop: Header=BB1_2 Depth=1
	v_mov_b32_e32 v10, 0x78
	s_mov_b32 s33, exec_lo
	v_cmpx_ngt_f64_e32 s[70:71], v[0:1]
	s_cbranch_execz .LBB1_3487
; %bb.3428:                             ;   in Loop: Header=BB1_2 Depth=1
	v_mov_b32_e32 v10, 0x74
	s_mov_b32 s34, exec_lo
	;; [unrolled: 5-line block ×30, first 2 shown]
	v_cmpx_gt_f64_e32 s[52:53], v[0:1]
; %bb.3457:                             ;   in Loop: Header=BB1_2 Depth=1
	v_mov_b32_e32 v10, 4
; %bb.3458:                             ;   in Loop: Header=BB1_2 Depth=1
	s_or_b32 exec_lo, exec_lo, s98
.LBB1_3459:                             ;   in Loop: Header=BB1_2 Depth=1
	s_delay_alu instid0(SALU_CYCLE_1)
	s_or_b32 exec_lo, exec_lo, s97
.LBB1_3460:                             ;   in Loop: Header=BB1_2 Depth=1
	s_delay_alu instid0(SALU_CYCLE_1)
	s_or_b32 exec_lo, exec_lo, s96
.LBB1_3461:                             ;   in Loop: Header=BB1_2 Depth=1
	s_delay_alu instid0(SALU_CYCLE_1)
	s_or_b32 exec_lo, exec_lo, s95
.LBB1_3462:                             ;   in Loop: Header=BB1_2 Depth=1
	s_delay_alu instid0(SALU_CYCLE_1)
	s_or_b32 exec_lo, exec_lo, s94
.LBB1_3463:                             ;   in Loop: Header=BB1_2 Depth=1
	s_delay_alu instid0(SALU_CYCLE_1)
	s_or_b32 exec_lo, exec_lo, s93
.LBB1_3464:                             ;   in Loop: Header=BB1_2 Depth=1
	s_delay_alu instid0(SALU_CYCLE_1)
	s_or_b32 exec_lo, exec_lo, s92
.LBB1_3465:                             ;   in Loop: Header=BB1_2 Depth=1
	s_delay_alu instid0(SALU_CYCLE_1)
	s_or_b32 exec_lo, exec_lo, s91
.LBB1_3466:                             ;   in Loop: Header=BB1_2 Depth=1
	s_delay_alu instid0(SALU_CYCLE_1)
	s_or_b32 exec_lo, exec_lo, s90
.LBB1_3467:                             ;   in Loop: Header=BB1_2 Depth=1
	s_delay_alu instid0(SALU_CYCLE_1)
	s_or_b32 exec_lo, exec_lo, s89
.LBB1_3468:                             ;   in Loop: Header=BB1_2 Depth=1
	s_delay_alu instid0(SALU_CYCLE_1)
	s_or_b32 exec_lo, exec_lo, s88
.LBB1_3469:                             ;   in Loop: Header=BB1_2 Depth=1
	s_delay_alu instid0(SALU_CYCLE_1)
	s_or_b32 exec_lo, exec_lo, s87
.LBB1_3470:                             ;   in Loop: Header=BB1_2 Depth=1
	s_delay_alu instid0(SALU_CYCLE_1)
	s_or_b32 exec_lo, exec_lo, s86
.LBB1_3471:                             ;   in Loop: Header=BB1_2 Depth=1
	s_delay_alu instid0(SALU_CYCLE_1)
	s_or_b32 exec_lo, exec_lo, s85
.LBB1_3472:                             ;   in Loop: Header=BB1_2 Depth=1
	s_delay_alu instid0(SALU_CYCLE_1)
	s_or_b32 exec_lo, exec_lo, s84
.LBB1_3473:                             ;   in Loop: Header=BB1_2 Depth=1
	s_delay_alu instid0(SALU_CYCLE_1)
	s_or_b32 exec_lo, exec_lo, s83
.LBB1_3474:                             ;   in Loop: Header=BB1_2 Depth=1
	s_delay_alu instid0(SALU_CYCLE_1)
	s_or_b32 exec_lo, exec_lo, s82
.LBB1_3475:                             ;   in Loop: Header=BB1_2 Depth=1
	s_delay_alu instid0(SALU_CYCLE_1)
	s_or_b32 exec_lo, exec_lo, s81
.LBB1_3476:                             ;   in Loop: Header=BB1_2 Depth=1
	s_delay_alu instid0(SALU_CYCLE_1)
	s_or_b32 exec_lo, exec_lo, s80
.LBB1_3477:                             ;   in Loop: Header=BB1_2 Depth=1
	s_delay_alu instid0(SALU_CYCLE_1)
	s_or_b32 exec_lo, exec_lo, s79
.LBB1_3478:                             ;   in Loop: Header=BB1_2 Depth=1
	s_delay_alu instid0(SALU_CYCLE_1)
	s_or_b32 exec_lo, exec_lo, s78
.LBB1_3479:                             ;   in Loop: Header=BB1_2 Depth=1
	s_delay_alu instid0(SALU_CYCLE_1)
	s_or_b32 exec_lo, exec_lo, s77
.LBB1_3480:                             ;   in Loop: Header=BB1_2 Depth=1
	s_delay_alu instid0(SALU_CYCLE_1)
	s_or_b32 exec_lo, exec_lo, s76
.LBB1_3481:                             ;   in Loop: Header=BB1_2 Depth=1
	s_delay_alu instid0(SALU_CYCLE_1)
	s_or_b32 exec_lo, exec_lo, s75
.LBB1_3482:                             ;   in Loop: Header=BB1_2 Depth=1
	s_delay_alu instid0(SALU_CYCLE_1)
	s_or_b32 exec_lo, exec_lo, s74
.LBB1_3483:                             ;   in Loop: Header=BB1_2 Depth=1
	s_delay_alu instid0(SALU_CYCLE_1)
	s_or_b32 exec_lo, exec_lo, s73
.LBB1_3484:                             ;   in Loop: Header=BB1_2 Depth=1
	s_delay_alu instid0(SALU_CYCLE_1)
	s_or_b32 exec_lo, exec_lo, s72
.LBB1_3485:                             ;   in Loop: Header=BB1_2 Depth=1
	s_delay_alu instid0(SALU_CYCLE_1)
	s_or_b32 exec_lo, exec_lo, s35
.LBB1_3486:                             ;   in Loop: Header=BB1_2 Depth=1
	s_delay_alu instid0(SALU_CYCLE_1)
	s_or_b32 exec_lo, exec_lo, s34
.LBB1_3487:                             ;   in Loop: Header=BB1_2 Depth=1
	s_delay_alu instid0(SALU_CYCLE_1)
	s_or_b32 exec_lo, exec_lo, s33
.LBB1_3488:                             ;   in Loop: Header=BB1_2 Depth=1
	s_delay_alu instid0(SALU_CYCLE_1)
	s_or_b32 exec_lo, exec_lo, s31
	v_mov_b32_e32 v0, s1
	s_mov_b32 s31, exec_lo
	ds_load_2addr_b64 v[12:15], v0 offset0:99 offset1:100
	ds_load_b64 v[16:17], v0 offset:808
	s_wait_dscnt 0x1
	v_mul_f64_e32 v[0:1], v[4:5], v[14:15]
	s_delay_alu instid0(VALU_DEP_1) | instskip(SKIP_1) | instid1(VALU_DEP_1)
	v_fmac_f64_e32 v[0:1], v[2:3], v[12:13]
	s_wait_dscnt 0x0
	v_fmac_f64_e32 v[0:1], v[6:7], v[16:17]
	s_delay_alu instid0(VALU_DEP_1)
	v_cmpx_ngt_f64_e32 s[28:29], v[0:1]
	s_xor_b32 s31, exec_lo, s31
	s_cbranch_execz .LBB1_3608
; %bb.3489:                             ;   in Loop: Header=BB1_2 Depth=1
	s_mov_b32 s33, exec_lo
	v_cmpx_ngt_f64_e32 s[70:71], v[0:1]
	s_xor_b32 s33, exec_lo, s33
	s_cbranch_execz .LBB1_3605
; %bb.3490:                             ;   in Loop: Header=BB1_2 Depth=1
	s_mov_b32 s34, exec_lo
	;; [unrolled: 5-line block ×30, first 2 shown]
	v_cmpx_gt_f64_e32 s[52:53], v[0:1]
; %bb.3519:                             ;   in Loop: Header=BB1_2 Depth=1
	v_or_b32_e32 v10, 0x400, v10
; %bb.3520:                             ;   in Loop: Header=BB1_2 Depth=1
	s_or_b32 exec_lo, exec_lo, s98
.LBB1_3521:                             ;   in Loop: Header=BB1_2 Depth=1
	s_and_not1_saveexec_b32 s97, s97
; %bb.3522:                             ;   in Loop: Header=BB1_2 Depth=1
	s_delay_alu instid0(VALU_DEP_1)
	v_or_b32_e32 v10, 0x800, v10
; %bb.3523:                             ;   in Loop: Header=BB1_2 Depth=1
	s_or_b32 exec_lo, exec_lo, s97
.LBB1_3524:                             ;   in Loop: Header=BB1_2 Depth=1
	s_and_not1_saveexec_b32 s96, s96
; %bb.3525:                             ;   in Loop: Header=BB1_2 Depth=1
	s_delay_alu instid0(VALU_DEP_1)
	v_or_b32_e32 v10, 0xc00, v10
; %bb.3526:                             ;   in Loop: Header=BB1_2 Depth=1
	s_or_b32 exec_lo, exec_lo, s96
.LBB1_3527:                             ;   in Loop: Header=BB1_2 Depth=1
	s_and_not1_saveexec_b32 s95, s95
; %bb.3528:                             ;   in Loop: Header=BB1_2 Depth=1
	s_delay_alu instid0(VALU_DEP_1)
	v_or_b32_e32 v10, 0x1000, v10
; %bb.3529:                             ;   in Loop: Header=BB1_2 Depth=1
	s_or_b32 exec_lo, exec_lo, s95
.LBB1_3530:                             ;   in Loop: Header=BB1_2 Depth=1
	s_and_not1_saveexec_b32 s94, s94
; %bb.3531:                             ;   in Loop: Header=BB1_2 Depth=1
	s_delay_alu instid0(VALU_DEP_1)
	v_or_b32_e32 v10, 0x1400, v10
; %bb.3532:                             ;   in Loop: Header=BB1_2 Depth=1
	s_or_b32 exec_lo, exec_lo, s94
.LBB1_3533:                             ;   in Loop: Header=BB1_2 Depth=1
	s_and_not1_saveexec_b32 s93, s93
; %bb.3534:                             ;   in Loop: Header=BB1_2 Depth=1
	s_delay_alu instid0(VALU_DEP_1)
	v_or_b32_e32 v10, 0x1800, v10
; %bb.3535:                             ;   in Loop: Header=BB1_2 Depth=1
	s_or_b32 exec_lo, exec_lo, s93
.LBB1_3536:                             ;   in Loop: Header=BB1_2 Depth=1
	s_and_not1_saveexec_b32 s92, s92
; %bb.3537:                             ;   in Loop: Header=BB1_2 Depth=1
	s_delay_alu instid0(VALU_DEP_1)
	v_or_b32_e32 v10, 0x1c00, v10
; %bb.3538:                             ;   in Loop: Header=BB1_2 Depth=1
	s_or_b32 exec_lo, exec_lo, s92
.LBB1_3539:                             ;   in Loop: Header=BB1_2 Depth=1
	s_and_not1_saveexec_b32 s91, s91
; %bb.3540:                             ;   in Loop: Header=BB1_2 Depth=1
	s_delay_alu instid0(VALU_DEP_1)
	v_or_b32_e32 v10, 0x2000, v10
; %bb.3541:                             ;   in Loop: Header=BB1_2 Depth=1
	s_or_b32 exec_lo, exec_lo, s91
.LBB1_3542:                             ;   in Loop: Header=BB1_2 Depth=1
	s_and_not1_saveexec_b32 s90, s90
; %bb.3543:                             ;   in Loop: Header=BB1_2 Depth=1
	s_delay_alu instid0(VALU_DEP_1)
	v_or_b32_e32 v10, 0x2400, v10
; %bb.3544:                             ;   in Loop: Header=BB1_2 Depth=1
	s_or_b32 exec_lo, exec_lo, s90
.LBB1_3545:                             ;   in Loop: Header=BB1_2 Depth=1
	s_and_not1_saveexec_b32 s89, s89
; %bb.3546:                             ;   in Loop: Header=BB1_2 Depth=1
	s_delay_alu instid0(VALU_DEP_1)
	v_or_b32_e32 v10, 0x2800, v10
; %bb.3547:                             ;   in Loop: Header=BB1_2 Depth=1
	s_or_b32 exec_lo, exec_lo, s89
.LBB1_3548:                             ;   in Loop: Header=BB1_2 Depth=1
	s_and_not1_saveexec_b32 s88, s88
; %bb.3549:                             ;   in Loop: Header=BB1_2 Depth=1
	s_delay_alu instid0(VALU_DEP_1)
	v_or_b32_e32 v10, 0x2c00, v10
; %bb.3550:                             ;   in Loop: Header=BB1_2 Depth=1
	s_or_b32 exec_lo, exec_lo, s88
.LBB1_3551:                             ;   in Loop: Header=BB1_2 Depth=1
	s_and_not1_saveexec_b32 s87, s87
; %bb.3552:                             ;   in Loop: Header=BB1_2 Depth=1
	s_delay_alu instid0(VALU_DEP_1)
	v_or_b32_e32 v10, 0x3000, v10
; %bb.3553:                             ;   in Loop: Header=BB1_2 Depth=1
	s_or_b32 exec_lo, exec_lo, s87
.LBB1_3554:                             ;   in Loop: Header=BB1_2 Depth=1
	s_and_not1_saveexec_b32 s86, s86
; %bb.3555:                             ;   in Loop: Header=BB1_2 Depth=1
	s_delay_alu instid0(VALU_DEP_1)
	v_or_b32_e32 v10, 0x3400, v10
; %bb.3556:                             ;   in Loop: Header=BB1_2 Depth=1
	s_or_b32 exec_lo, exec_lo, s86
.LBB1_3557:                             ;   in Loop: Header=BB1_2 Depth=1
	s_and_not1_saveexec_b32 s85, s85
; %bb.3558:                             ;   in Loop: Header=BB1_2 Depth=1
	s_delay_alu instid0(VALU_DEP_1)
	v_or_b32_e32 v10, 0x3800, v10
; %bb.3559:                             ;   in Loop: Header=BB1_2 Depth=1
	s_or_b32 exec_lo, exec_lo, s85
.LBB1_3560:                             ;   in Loop: Header=BB1_2 Depth=1
	s_and_not1_saveexec_b32 s84, s84
; %bb.3561:                             ;   in Loop: Header=BB1_2 Depth=1
	s_delay_alu instid0(VALU_DEP_1)
	v_or_b32_e32 v10, 0x3c00, v10
; %bb.3562:                             ;   in Loop: Header=BB1_2 Depth=1
	s_or_b32 exec_lo, exec_lo, s84
.LBB1_3563:                             ;   in Loop: Header=BB1_2 Depth=1
	s_and_not1_saveexec_b32 s83, s83
; %bb.3564:                             ;   in Loop: Header=BB1_2 Depth=1
	s_delay_alu instid0(VALU_DEP_1)
	v_or_b32_e32 v10, 0x4000, v10
; %bb.3565:                             ;   in Loop: Header=BB1_2 Depth=1
	s_or_b32 exec_lo, exec_lo, s83
.LBB1_3566:                             ;   in Loop: Header=BB1_2 Depth=1
	s_and_not1_saveexec_b32 s82, s82
; %bb.3567:                             ;   in Loop: Header=BB1_2 Depth=1
	s_delay_alu instid0(VALU_DEP_1)
	v_or_b32_e32 v10, 0x4400, v10
; %bb.3568:                             ;   in Loop: Header=BB1_2 Depth=1
	s_or_b32 exec_lo, exec_lo, s82
.LBB1_3569:                             ;   in Loop: Header=BB1_2 Depth=1
	s_and_not1_saveexec_b32 s81, s81
; %bb.3570:                             ;   in Loop: Header=BB1_2 Depth=1
	s_delay_alu instid0(VALU_DEP_1)
	v_or_b32_e32 v10, 0x4800, v10
; %bb.3571:                             ;   in Loop: Header=BB1_2 Depth=1
	s_or_b32 exec_lo, exec_lo, s81
.LBB1_3572:                             ;   in Loop: Header=BB1_2 Depth=1
	s_and_not1_saveexec_b32 s80, s80
; %bb.3573:                             ;   in Loop: Header=BB1_2 Depth=1
	s_delay_alu instid0(VALU_DEP_1)
	v_or_b32_e32 v10, 0x4c00, v10
; %bb.3574:                             ;   in Loop: Header=BB1_2 Depth=1
	s_or_b32 exec_lo, exec_lo, s80
.LBB1_3575:                             ;   in Loop: Header=BB1_2 Depth=1
	s_and_not1_saveexec_b32 s79, s79
; %bb.3576:                             ;   in Loop: Header=BB1_2 Depth=1
	s_delay_alu instid0(VALU_DEP_1)
	v_or_b32_e32 v10, 0x5000, v10
; %bb.3577:                             ;   in Loop: Header=BB1_2 Depth=1
	s_or_b32 exec_lo, exec_lo, s79
.LBB1_3578:                             ;   in Loop: Header=BB1_2 Depth=1
	s_and_not1_saveexec_b32 s78, s78
; %bb.3579:                             ;   in Loop: Header=BB1_2 Depth=1
	s_delay_alu instid0(VALU_DEP_1)
	v_or_b32_e32 v10, 0x5400, v10
; %bb.3580:                             ;   in Loop: Header=BB1_2 Depth=1
	s_or_b32 exec_lo, exec_lo, s78
.LBB1_3581:                             ;   in Loop: Header=BB1_2 Depth=1
	s_and_not1_saveexec_b32 s77, s77
; %bb.3582:                             ;   in Loop: Header=BB1_2 Depth=1
	s_delay_alu instid0(VALU_DEP_1)
	v_or_b32_e32 v10, 0x5800, v10
; %bb.3583:                             ;   in Loop: Header=BB1_2 Depth=1
	s_or_b32 exec_lo, exec_lo, s77
.LBB1_3584:                             ;   in Loop: Header=BB1_2 Depth=1
	s_and_not1_saveexec_b32 s76, s76
; %bb.3585:                             ;   in Loop: Header=BB1_2 Depth=1
	s_delay_alu instid0(VALU_DEP_1)
	v_or_b32_e32 v10, 0x5c00, v10
; %bb.3586:                             ;   in Loop: Header=BB1_2 Depth=1
	s_or_b32 exec_lo, exec_lo, s76
.LBB1_3587:                             ;   in Loop: Header=BB1_2 Depth=1
	s_and_not1_saveexec_b32 s75, s75
; %bb.3588:                             ;   in Loop: Header=BB1_2 Depth=1
	s_delay_alu instid0(VALU_DEP_1)
	v_or_b32_e32 v10, 0x6000, v10
; %bb.3589:                             ;   in Loop: Header=BB1_2 Depth=1
	s_or_b32 exec_lo, exec_lo, s75
.LBB1_3590:                             ;   in Loop: Header=BB1_2 Depth=1
	s_and_not1_saveexec_b32 s74, s74
; %bb.3591:                             ;   in Loop: Header=BB1_2 Depth=1
	s_delay_alu instid0(VALU_DEP_1)
	v_or_b32_e32 v10, 0x6400, v10
; %bb.3592:                             ;   in Loop: Header=BB1_2 Depth=1
	s_or_b32 exec_lo, exec_lo, s74
.LBB1_3593:                             ;   in Loop: Header=BB1_2 Depth=1
	s_and_not1_saveexec_b32 s73, s73
; %bb.3594:                             ;   in Loop: Header=BB1_2 Depth=1
	s_delay_alu instid0(VALU_DEP_1)
	v_or_b32_e32 v10, 0x6800, v10
; %bb.3595:                             ;   in Loop: Header=BB1_2 Depth=1
	s_or_b32 exec_lo, exec_lo, s73
.LBB1_3596:                             ;   in Loop: Header=BB1_2 Depth=1
	s_and_not1_saveexec_b32 s72, s72
; %bb.3597:                             ;   in Loop: Header=BB1_2 Depth=1
	s_delay_alu instid0(VALU_DEP_1)
	v_or_b32_e32 v10, 0x6c00, v10
; %bb.3598:                             ;   in Loop: Header=BB1_2 Depth=1
	s_or_b32 exec_lo, exec_lo, s72
.LBB1_3599:                             ;   in Loop: Header=BB1_2 Depth=1
	s_and_not1_saveexec_b32 s35, s35
; %bb.3600:                             ;   in Loop: Header=BB1_2 Depth=1
	s_delay_alu instid0(VALU_DEP_1)
	v_or_b32_e32 v10, 0x7000, v10
; %bb.3601:                             ;   in Loop: Header=BB1_2 Depth=1
	s_or_b32 exec_lo, exec_lo, s35
.LBB1_3602:                             ;   in Loop: Header=BB1_2 Depth=1
	s_and_not1_saveexec_b32 s34, s34
; %bb.3603:                             ;   in Loop: Header=BB1_2 Depth=1
	s_delay_alu instid0(VALU_DEP_1)
	v_or_b32_e32 v10, 0x7400, v10
; %bb.3604:                             ;   in Loop: Header=BB1_2 Depth=1
	s_or_b32 exec_lo, exec_lo, s34
.LBB1_3605:                             ;   in Loop: Header=BB1_2 Depth=1
	s_and_not1_saveexec_b32 s33, s33
; %bb.3606:                             ;   in Loop: Header=BB1_2 Depth=1
	s_delay_alu instid0(VALU_DEP_1)
	v_or_b32_e32 v10, 0x7800, v10
; %bb.3607:                             ;   in Loop: Header=BB1_2 Depth=1
	s_or_b32 exec_lo, exec_lo, s33
.LBB1_3608:                             ;   in Loop: Header=BB1_2 Depth=1
	s_and_not1_saveexec_b32 s31, s31
; %bb.3609:                             ;   in Loop: Header=BB1_2 Depth=1
	s_delay_alu instid0(VALU_DEP_1)
	v_or_b32_e32 v10, 0x7c00, v10
; %bb.3610:                             ;   in Loop: Header=BB1_2 Depth=1
	s_or_b32 exec_lo, exec_lo, s31
	v_mov_b32_e32 v0, s1
	s_mov_b32 s31, exec_lo
	ds_load_2addr_b64 v[12:15], v0 offset0:102 offset1:103
	ds_load_b64 v[16:17], v0 offset:832
	s_wait_dscnt 0x1
	v_mul_f64_e32 v[0:1], v[4:5], v[14:15]
	s_delay_alu instid0(VALU_DEP_1) | instskip(SKIP_1) | instid1(VALU_DEP_1)
	v_fmac_f64_e32 v[0:1], v[2:3], v[12:13]
	s_wait_dscnt 0x0
	v_fmac_f64_e32 v[0:1], v[6:7], v[16:17]
	s_delay_alu instid0(VALU_DEP_1)
	v_cmpx_ngt_f64_e32 s[28:29], v[0:1]
	s_xor_b32 s31, exec_lo, s31
	s_cbranch_execz .LBB1_3730
; %bb.3611:                             ;   in Loop: Header=BB1_2 Depth=1
	s_mov_b32 s33, exec_lo
	v_cmpx_ngt_f64_e32 s[70:71], v[0:1]
	s_xor_b32 s33, exec_lo, s33
	s_cbranch_execz .LBB1_3727
; %bb.3612:                             ;   in Loop: Header=BB1_2 Depth=1
	s_mov_b32 s34, exec_lo
	v_cmpx_ngt_f64_e32 s[68:69], v[0:1]
	s_xor_b32 s34, exec_lo, s34
	s_cbranch_execz .LBB1_3724
; %bb.3613:                             ;   in Loop: Header=BB1_2 Depth=1
	s_mov_b32 s35, exec_lo
	v_cmpx_ngt_f64_e32 s[26:27], v[0:1]
	s_xor_b32 s35, exec_lo, s35
	s_cbranch_execz .LBB1_3721
; %bb.3614:                             ;   in Loop: Header=BB1_2 Depth=1
	s_mov_b32 s72, exec_lo
	v_cmpx_ngt_f64_e32 s[24:25], v[0:1]
	s_xor_b32 s72, exec_lo, s72
	s_cbranch_execz .LBB1_3718
; %bb.3615:                             ;   in Loop: Header=BB1_2 Depth=1
	s_mov_b32 s73, exec_lo
	v_cmpx_ngt_f64_e32 s[22:23], v[0:1]
	s_xor_b32 s73, exec_lo, s73
	s_cbranch_execz .LBB1_3715
; %bb.3616:                             ;   in Loop: Header=BB1_2 Depth=1
	s_mov_b32 s74, exec_lo
	v_cmpx_ngt_f64_e32 s[20:21], v[0:1]
	s_xor_b32 s74, exec_lo, s74
	s_cbranch_execz .LBB1_3712
; %bb.3617:                             ;   in Loop: Header=BB1_2 Depth=1
	s_mov_b32 s75, exec_lo
	v_cmpx_ngt_f64_e32 s[18:19], v[0:1]
	s_xor_b32 s75, exec_lo, s75
	s_cbranch_execz .LBB1_3709
; %bb.3618:                             ;   in Loop: Header=BB1_2 Depth=1
	s_mov_b32 s76, exec_lo
	v_cmpx_ngt_f64_e32 s[16:17], v[0:1]
	s_xor_b32 s76, exec_lo, s76
	s_cbranch_execz .LBB1_3706
; %bb.3619:                             ;   in Loop: Header=BB1_2 Depth=1
	s_mov_b32 s77, exec_lo
	v_cmpx_ngt_f64_e32 s[14:15], v[0:1]
	s_xor_b32 s77, exec_lo, s77
	s_cbranch_execz .LBB1_3703
; %bb.3620:                             ;   in Loop: Header=BB1_2 Depth=1
	s_mov_b32 s78, exec_lo
	v_cmpx_ngt_f64_e32 s[12:13], v[0:1]
	s_xor_b32 s78, exec_lo, s78
	s_cbranch_execz .LBB1_3700
; %bb.3621:                             ;   in Loop: Header=BB1_2 Depth=1
	s_mov_b32 s79, exec_lo
	v_cmpx_ngt_f64_e32 s[10:11], v[0:1]
	s_xor_b32 s79, exec_lo, s79
	s_cbranch_execz .LBB1_3697
; %bb.3622:                             ;   in Loop: Header=BB1_2 Depth=1
	s_mov_b32 s80, exec_lo
	v_cmpx_ngt_f64_e32 s[8:9], v[0:1]
	s_xor_b32 s80, exec_lo, s80
	s_cbranch_execz .LBB1_3694
; %bb.3623:                             ;   in Loop: Header=BB1_2 Depth=1
	s_mov_b32 s81, exec_lo
	v_cmpx_ngt_f64_e32 s[6:7], v[0:1]
	s_xor_b32 s81, exec_lo, s81
	s_cbranch_execz .LBB1_3691
; %bb.3624:                             ;   in Loop: Header=BB1_2 Depth=1
	s_mov_b32 s82, exec_lo
	v_cmpx_ngt_f64_e32 s[4:5], v[0:1]
	s_xor_b32 s82, exec_lo, s82
	s_cbranch_execz .LBB1_3688
; %bb.3625:                             ;   in Loop: Header=BB1_2 Depth=1
	s_mov_b32 s83, exec_lo
	v_cmpx_ngt_f64_e32 s[50:51], v[0:1]
	s_xor_b32 s83, exec_lo, s83
	s_cbranch_execz .LBB1_3685
; %bb.3626:                             ;   in Loop: Header=BB1_2 Depth=1
	s_mov_b32 s84, exec_lo
	v_cmpx_ngt_f64_e32 s[48:49], v[0:1]
	s_xor_b32 s84, exec_lo, s84
	s_cbranch_execz .LBB1_3682
; %bb.3627:                             ;   in Loop: Header=BB1_2 Depth=1
	s_mov_b32 s85, exec_lo
	v_cmpx_ngt_f64_e32 s[46:47], v[0:1]
	s_xor_b32 s85, exec_lo, s85
	s_cbranch_execz .LBB1_3679
; %bb.3628:                             ;   in Loop: Header=BB1_2 Depth=1
	s_mov_b32 s86, exec_lo
	v_cmpx_ngt_f64_e32 s[44:45], v[0:1]
	s_xor_b32 s86, exec_lo, s86
	s_cbranch_execz .LBB1_3676
; %bb.3629:                             ;   in Loop: Header=BB1_2 Depth=1
	s_mov_b32 s87, exec_lo
	v_cmpx_ngt_f64_e32 s[42:43], v[0:1]
	s_xor_b32 s87, exec_lo, s87
	s_cbranch_execz .LBB1_3673
; %bb.3630:                             ;   in Loop: Header=BB1_2 Depth=1
	s_mov_b32 s88, exec_lo
	v_cmpx_ngt_f64_e32 s[40:41], v[0:1]
	s_xor_b32 s88, exec_lo, s88
	s_cbranch_execz .LBB1_3670
; %bb.3631:                             ;   in Loop: Header=BB1_2 Depth=1
	s_mov_b32 s89, exec_lo
	v_cmpx_ngt_f64_e32 s[38:39], v[0:1]
	s_xor_b32 s89, exec_lo, s89
	s_cbranch_execz .LBB1_3667
; %bb.3632:                             ;   in Loop: Header=BB1_2 Depth=1
	s_mov_b32 s90, exec_lo
	v_cmpx_ngt_f64_e32 s[36:37], v[0:1]
	s_xor_b32 s90, exec_lo, s90
	s_cbranch_execz .LBB1_3664
; %bb.3633:                             ;   in Loop: Header=BB1_2 Depth=1
	s_mov_b32 s91, exec_lo
	v_cmpx_ngt_f64_e32 s[66:67], v[0:1]
	s_xor_b32 s91, exec_lo, s91
	s_cbranch_execz .LBB1_3661
; %bb.3634:                             ;   in Loop: Header=BB1_2 Depth=1
	s_mov_b32 s92, exec_lo
	v_cmpx_ngt_f64_e32 s[64:65], v[0:1]
	s_xor_b32 s92, exec_lo, s92
	s_cbranch_execz .LBB1_3658
; %bb.3635:                             ;   in Loop: Header=BB1_2 Depth=1
	s_mov_b32 s93, exec_lo
	v_cmpx_ngt_f64_e32 s[62:63], v[0:1]
	s_xor_b32 s93, exec_lo, s93
	s_cbranch_execz .LBB1_3655
; %bb.3636:                             ;   in Loop: Header=BB1_2 Depth=1
	s_mov_b32 s94, exec_lo
	v_cmpx_ngt_f64_e32 s[60:61], v[0:1]
	s_xor_b32 s94, exec_lo, s94
	s_cbranch_execz .LBB1_3652
; %bb.3637:                             ;   in Loop: Header=BB1_2 Depth=1
	s_mov_b32 s95, exec_lo
	v_cmpx_ngt_f64_e32 s[58:59], v[0:1]
	s_xor_b32 s95, exec_lo, s95
	s_cbranch_execz .LBB1_3649
; %bb.3638:                             ;   in Loop: Header=BB1_2 Depth=1
	s_mov_b32 s96, exec_lo
	v_cmpx_ngt_f64_e32 s[56:57], v[0:1]
	s_xor_b32 s96, exec_lo, s96
	s_cbranch_execz .LBB1_3646
; %bb.3639:                             ;   in Loop: Header=BB1_2 Depth=1
	s_mov_b32 s97, exec_lo
	v_cmpx_ngt_f64_e32 s[54:55], v[0:1]
	s_xor_b32 s97, exec_lo, s97
	s_cbranch_execz .LBB1_3643
; %bb.3640:                             ;   in Loop: Header=BB1_2 Depth=1
	s_mov_b32 s98, exec_lo
	v_cmpx_gt_f64_e32 s[52:53], v[0:1]
; %bb.3641:                             ;   in Loop: Header=BB1_2 Depth=1
	v_add_nc_u32_e32 v10, 0x40000, v10
; %bb.3642:                             ;   in Loop: Header=BB1_2 Depth=1
	s_or_b32 exec_lo, exec_lo, s98
.LBB1_3643:                             ;   in Loop: Header=BB1_2 Depth=1
	s_and_not1_saveexec_b32 s97, s97
; %bb.3644:                             ;   in Loop: Header=BB1_2 Depth=1
	s_delay_alu instid0(VALU_DEP_1)
	v_add_nc_u32_e32 v10, 0x80000, v10
; %bb.3645:                             ;   in Loop: Header=BB1_2 Depth=1
	s_or_b32 exec_lo, exec_lo, s97
.LBB1_3646:                             ;   in Loop: Header=BB1_2 Depth=1
	s_and_not1_saveexec_b32 s96, s96
; %bb.3647:                             ;   in Loop: Header=BB1_2 Depth=1
	s_delay_alu instid0(VALU_DEP_1)
	v_add_nc_u32_e32 v10, 0xc0000, v10
; %bb.3648:                             ;   in Loop: Header=BB1_2 Depth=1
	s_or_b32 exec_lo, exec_lo, s96
.LBB1_3649:                             ;   in Loop: Header=BB1_2 Depth=1
	s_and_not1_saveexec_b32 s95, s95
; %bb.3650:                             ;   in Loop: Header=BB1_2 Depth=1
	s_delay_alu instid0(VALU_DEP_1)
	v_add_nc_u32_e32 v10, 0x100000, v10
; %bb.3651:                             ;   in Loop: Header=BB1_2 Depth=1
	s_or_b32 exec_lo, exec_lo, s95
.LBB1_3652:                             ;   in Loop: Header=BB1_2 Depth=1
	s_and_not1_saveexec_b32 s94, s94
; %bb.3653:                             ;   in Loop: Header=BB1_2 Depth=1
	s_delay_alu instid0(VALU_DEP_1)
	v_add_nc_u32_e32 v10, 0x140000, v10
; %bb.3654:                             ;   in Loop: Header=BB1_2 Depth=1
	s_or_b32 exec_lo, exec_lo, s94
.LBB1_3655:                             ;   in Loop: Header=BB1_2 Depth=1
	s_and_not1_saveexec_b32 s93, s93
; %bb.3656:                             ;   in Loop: Header=BB1_2 Depth=1
	s_delay_alu instid0(VALU_DEP_1)
	v_add_nc_u32_e32 v10, 0x180000, v10
; %bb.3657:                             ;   in Loop: Header=BB1_2 Depth=1
	s_or_b32 exec_lo, exec_lo, s93
.LBB1_3658:                             ;   in Loop: Header=BB1_2 Depth=1
	s_and_not1_saveexec_b32 s92, s92
; %bb.3659:                             ;   in Loop: Header=BB1_2 Depth=1
	s_delay_alu instid0(VALU_DEP_1)
	v_add_nc_u32_e32 v10, 0x1c0000, v10
; %bb.3660:                             ;   in Loop: Header=BB1_2 Depth=1
	s_or_b32 exec_lo, exec_lo, s92
.LBB1_3661:                             ;   in Loop: Header=BB1_2 Depth=1
	s_and_not1_saveexec_b32 s91, s91
; %bb.3662:                             ;   in Loop: Header=BB1_2 Depth=1
	s_delay_alu instid0(VALU_DEP_1)
	v_add_nc_u32_e32 v10, 0x200000, v10
; %bb.3663:                             ;   in Loop: Header=BB1_2 Depth=1
	s_or_b32 exec_lo, exec_lo, s91
.LBB1_3664:                             ;   in Loop: Header=BB1_2 Depth=1
	s_and_not1_saveexec_b32 s90, s90
; %bb.3665:                             ;   in Loop: Header=BB1_2 Depth=1
	s_delay_alu instid0(VALU_DEP_1)
	v_add_nc_u32_e32 v10, 0x240000, v10
; %bb.3666:                             ;   in Loop: Header=BB1_2 Depth=1
	s_or_b32 exec_lo, exec_lo, s90
.LBB1_3667:                             ;   in Loop: Header=BB1_2 Depth=1
	s_and_not1_saveexec_b32 s89, s89
; %bb.3668:                             ;   in Loop: Header=BB1_2 Depth=1
	s_delay_alu instid0(VALU_DEP_1)
	v_add_nc_u32_e32 v10, 0x280000, v10
; %bb.3669:                             ;   in Loop: Header=BB1_2 Depth=1
	s_or_b32 exec_lo, exec_lo, s89
.LBB1_3670:                             ;   in Loop: Header=BB1_2 Depth=1
	s_and_not1_saveexec_b32 s88, s88
; %bb.3671:                             ;   in Loop: Header=BB1_2 Depth=1
	s_delay_alu instid0(VALU_DEP_1)
	v_add_nc_u32_e32 v10, 0x2c0000, v10
; %bb.3672:                             ;   in Loop: Header=BB1_2 Depth=1
	s_or_b32 exec_lo, exec_lo, s88
.LBB1_3673:                             ;   in Loop: Header=BB1_2 Depth=1
	s_and_not1_saveexec_b32 s87, s87
; %bb.3674:                             ;   in Loop: Header=BB1_2 Depth=1
	s_delay_alu instid0(VALU_DEP_1)
	v_add_nc_u32_e32 v10, 0x300000, v10
; %bb.3675:                             ;   in Loop: Header=BB1_2 Depth=1
	s_or_b32 exec_lo, exec_lo, s87
.LBB1_3676:                             ;   in Loop: Header=BB1_2 Depth=1
	s_and_not1_saveexec_b32 s86, s86
; %bb.3677:                             ;   in Loop: Header=BB1_2 Depth=1
	s_delay_alu instid0(VALU_DEP_1)
	v_add_nc_u32_e32 v10, 0x340000, v10
; %bb.3678:                             ;   in Loop: Header=BB1_2 Depth=1
	s_or_b32 exec_lo, exec_lo, s86
.LBB1_3679:                             ;   in Loop: Header=BB1_2 Depth=1
	s_and_not1_saveexec_b32 s85, s85
; %bb.3680:                             ;   in Loop: Header=BB1_2 Depth=1
	s_delay_alu instid0(VALU_DEP_1)
	v_add_nc_u32_e32 v10, 0x380000, v10
; %bb.3681:                             ;   in Loop: Header=BB1_2 Depth=1
	s_or_b32 exec_lo, exec_lo, s85
.LBB1_3682:                             ;   in Loop: Header=BB1_2 Depth=1
	s_and_not1_saveexec_b32 s84, s84
; %bb.3683:                             ;   in Loop: Header=BB1_2 Depth=1
	s_delay_alu instid0(VALU_DEP_1)
	v_add_nc_u32_e32 v10, 0x3c0000, v10
; %bb.3684:                             ;   in Loop: Header=BB1_2 Depth=1
	s_or_b32 exec_lo, exec_lo, s84
.LBB1_3685:                             ;   in Loop: Header=BB1_2 Depth=1
	s_and_not1_saveexec_b32 s83, s83
; %bb.3686:                             ;   in Loop: Header=BB1_2 Depth=1
	s_delay_alu instid0(VALU_DEP_1)
	v_add_nc_u32_e32 v10, 0x400000, v10
; %bb.3687:                             ;   in Loop: Header=BB1_2 Depth=1
	s_or_b32 exec_lo, exec_lo, s83
.LBB1_3688:                             ;   in Loop: Header=BB1_2 Depth=1
	s_and_not1_saveexec_b32 s82, s82
; %bb.3689:                             ;   in Loop: Header=BB1_2 Depth=1
	s_delay_alu instid0(VALU_DEP_1)
	v_add_nc_u32_e32 v10, 0x440000, v10
; %bb.3690:                             ;   in Loop: Header=BB1_2 Depth=1
	s_or_b32 exec_lo, exec_lo, s82
.LBB1_3691:                             ;   in Loop: Header=BB1_2 Depth=1
	s_and_not1_saveexec_b32 s81, s81
; %bb.3692:                             ;   in Loop: Header=BB1_2 Depth=1
	s_delay_alu instid0(VALU_DEP_1)
	v_add_nc_u32_e32 v10, 0x480000, v10
; %bb.3693:                             ;   in Loop: Header=BB1_2 Depth=1
	s_or_b32 exec_lo, exec_lo, s81
.LBB1_3694:                             ;   in Loop: Header=BB1_2 Depth=1
	s_and_not1_saveexec_b32 s80, s80
; %bb.3695:                             ;   in Loop: Header=BB1_2 Depth=1
	s_delay_alu instid0(VALU_DEP_1)
	v_add_nc_u32_e32 v10, 0x4c0000, v10
; %bb.3696:                             ;   in Loop: Header=BB1_2 Depth=1
	s_or_b32 exec_lo, exec_lo, s80
.LBB1_3697:                             ;   in Loop: Header=BB1_2 Depth=1
	s_and_not1_saveexec_b32 s79, s79
; %bb.3698:                             ;   in Loop: Header=BB1_2 Depth=1
	s_delay_alu instid0(VALU_DEP_1)
	v_add_nc_u32_e32 v10, 0x500000, v10
; %bb.3699:                             ;   in Loop: Header=BB1_2 Depth=1
	s_or_b32 exec_lo, exec_lo, s79
.LBB1_3700:                             ;   in Loop: Header=BB1_2 Depth=1
	s_and_not1_saveexec_b32 s78, s78
; %bb.3701:                             ;   in Loop: Header=BB1_2 Depth=1
	s_delay_alu instid0(VALU_DEP_1)
	v_add_nc_u32_e32 v10, 0x540000, v10
; %bb.3702:                             ;   in Loop: Header=BB1_2 Depth=1
	s_or_b32 exec_lo, exec_lo, s78
.LBB1_3703:                             ;   in Loop: Header=BB1_2 Depth=1
	s_and_not1_saveexec_b32 s77, s77
; %bb.3704:                             ;   in Loop: Header=BB1_2 Depth=1
	s_delay_alu instid0(VALU_DEP_1)
	v_add_nc_u32_e32 v10, 0x580000, v10
; %bb.3705:                             ;   in Loop: Header=BB1_2 Depth=1
	s_or_b32 exec_lo, exec_lo, s77
.LBB1_3706:                             ;   in Loop: Header=BB1_2 Depth=1
	s_and_not1_saveexec_b32 s76, s76
; %bb.3707:                             ;   in Loop: Header=BB1_2 Depth=1
	s_delay_alu instid0(VALU_DEP_1)
	v_add_nc_u32_e32 v10, 0x5c0000, v10
; %bb.3708:                             ;   in Loop: Header=BB1_2 Depth=1
	s_or_b32 exec_lo, exec_lo, s76
.LBB1_3709:                             ;   in Loop: Header=BB1_2 Depth=1
	s_and_not1_saveexec_b32 s75, s75
; %bb.3710:                             ;   in Loop: Header=BB1_2 Depth=1
	s_delay_alu instid0(VALU_DEP_1)
	v_add_nc_u32_e32 v10, 0x600000, v10
; %bb.3711:                             ;   in Loop: Header=BB1_2 Depth=1
	s_or_b32 exec_lo, exec_lo, s75
.LBB1_3712:                             ;   in Loop: Header=BB1_2 Depth=1
	s_and_not1_saveexec_b32 s74, s74
; %bb.3713:                             ;   in Loop: Header=BB1_2 Depth=1
	s_delay_alu instid0(VALU_DEP_1)
	v_add_nc_u32_e32 v10, 0x640000, v10
; %bb.3714:                             ;   in Loop: Header=BB1_2 Depth=1
	s_or_b32 exec_lo, exec_lo, s74
.LBB1_3715:                             ;   in Loop: Header=BB1_2 Depth=1
	s_and_not1_saveexec_b32 s73, s73
; %bb.3716:                             ;   in Loop: Header=BB1_2 Depth=1
	s_delay_alu instid0(VALU_DEP_1)
	v_add_nc_u32_e32 v10, 0x680000, v10
; %bb.3717:                             ;   in Loop: Header=BB1_2 Depth=1
	s_or_b32 exec_lo, exec_lo, s73
.LBB1_3718:                             ;   in Loop: Header=BB1_2 Depth=1
	s_and_not1_saveexec_b32 s72, s72
; %bb.3719:                             ;   in Loop: Header=BB1_2 Depth=1
	s_delay_alu instid0(VALU_DEP_1)
	v_add_nc_u32_e32 v10, 0x6c0000, v10
; %bb.3720:                             ;   in Loop: Header=BB1_2 Depth=1
	s_or_b32 exec_lo, exec_lo, s72
.LBB1_3721:                             ;   in Loop: Header=BB1_2 Depth=1
	s_and_not1_saveexec_b32 s35, s35
; %bb.3722:                             ;   in Loop: Header=BB1_2 Depth=1
	s_delay_alu instid0(VALU_DEP_1)
	v_add_nc_u32_e32 v10, 0x700000, v10
; %bb.3723:                             ;   in Loop: Header=BB1_2 Depth=1
	s_or_b32 exec_lo, exec_lo, s35
.LBB1_3724:                             ;   in Loop: Header=BB1_2 Depth=1
	s_and_not1_saveexec_b32 s34, s34
; %bb.3725:                             ;   in Loop: Header=BB1_2 Depth=1
	s_delay_alu instid0(VALU_DEP_1)
	v_add_nc_u32_e32 v10, 0x740000, v10
; %bb.3726:                             ;   in Loop: Header=BB1_2 Depth=1
	s_or_b32 exec_lo, exec_lo, s34
.LBB1_3727:                             ;   in Loop: Header=BB1_2 Depth=1
	s_and_not1_saveexec_b32 s33, s33
; %bb.3728:                             ;   in Loop: Header=BB1_2 Depth=1
	s_delay_alu instid0(VALU_DEP_1)
	v_add_nc_u32_e32 v10, 0x780000, v10
; %bb.3729:                             ;   in Loop: Header=BB1_2 Depth=1
	s_or_b32 exec_lo, exec_lo, s33
.LBB1_3730:                             ;   in Loop: Header=BB1_2 Depth=1
	s_and_not1_saveexec_b32 s31, s31
; %bb.3731:                             ;   in Loop: Header=BB1_2 Depth=1
	s_delay_alu instid0(VALU_DEP_1)
	v_add_nc_u32_e32 v10, 0x7c0000, v10
; %bb.3732:                             ;   in Loop: Header=BB1_2 Depth=1
	s_or_b32 exec_lo, exec_lo, s31
	v_mov_b32_e32 v0, s1
	s_mov_b32 s31, exec_lo
	ds_load_2addr_b64 v[12:15], v0 offset0:105 offset1:106
	ds_load_b64 v[16:17], v0 offset:856
	s_wait_dscnt 0x1
	v_mul_f64_e32 v[0:1], v[4:5], v[14:15]
	s_delay_alu instid0(VALU_DEP_1) | instskip(SKIP_1) | instid1(VALU_DEP_1)
	v_fmac_f64_e32 v[0:1], v[2:3], v[12:13]
	s_wait_dscnt 0x0
	v_fmac_f64_e32 v[0:1], v[6:7], v[16:17]
	s_delay_alu instid0(VALU_DEP_1)
	v_cmpx_ngt_f64_e32 s[28:29], v[0:1]
	s_xor_b32 s31, exec_lo, s31
	s_cbranch_execz .LBB1_3852
; %bb.3733:                             ;   in Loop: Header=BB1_2 Depth=1
	s_mov_b32 s33, exec_lo
	v_cmpx_ngt_f64_e32 s[70:71], v[0:1]
	s_xor_b32 s33, exec_lo, s33
	s_cbranch_execz .LBB1_3849
; %bb.3734:                             ;   in Loop: Header=BB1_2 Depth=1
	s_mov_b32 s34, exec_lo
	;; [unrolled: 5-line block ×30, first 2 shown]
	v_cmpx_gt_f64_e32 s[52:53], v[0:1]
; %bb.3763:                             ;   in Loop: Header=BB1_2 Depth=1
	v_add_nc_u32_e32 v10, 0x4000000, v10
; %bb.3764:                             ;   in Loop: Header=BB1_2 Depth=1
	s_or_b32 exec_lo, exec_lo, s98
.LBB1_3765:                             ;   in Loop: Header=BB1_2 Depth=1
	s_and_not1_saveexec_b32 s97, s97
; %bb.3766:                             ;   in Loop: Header=BB1_2 Depth=1
	s_delay_alu instid0(VALU_DEP_1)
	v_add_nc_u32_e32 v10, 0x8000000, v10
; %bb.3767:                             ;   in Loop: Header=BB1_2 Depth=1
	s_or_b32 exec_lo, exec_lo, s97
.LBB1_3768:                             ;   in Loop: Header=BB1_2 Depth=1
	s_and_not1_saveexec_b32 s96, s96
; %bb.3769:                             ;   in Loop: Header=BB1_2 Depth=1
	s_delay_alu instid0(VALU_DEP_1)
	v_add_nc_u32_e32 v10, 0xc000000, v10
; %bb.3770:                             ;   in Loop: Header=BB1_2 Depth=1
	s_or_b32 exec_lo, exec_lo, s96
.LBB1_3771:                             ;   in Loop: Header=BB1_2 Depth=1
	s_and_not1_saveexec_b32 s95, s95
; %bb.3772:                             ;   in Loop: Header=BB1_2 Depth=1
	s_delay_alu instid0(VALU_DEP_1)
	v_add_nc_u32_e32 v10, 0x10000000, v10
; %bb.3773:                             ;   in Loop: Header=BB1_2 Depth=1
	s_or_b32 exec_lo, exec_lo, s95
.LBB1_3774:                             ;   in Loop: Header=BB1_2 Depth=1
	s_and_not1_saveexec_b32 s94, s94
; %bb.3775:                             ;   in Loop: Header=BB1_2 Depth=1
	s_delay_alu instid0(VALU_DEP_1)
	v_add_nc_u32_e32 v10, 0x14000000, v10
; %bb.3776:                             ;   in Loop: Header=BB1_2 Depth=1
	s_or_b32 exec_lo, exec_lo, s94
.LBB1_3777:                             ;   in Loop: Header=BB1_2 Depth=1
	s_and_not1_saveexec_b32 s93, s93
; %bb.3778:                             ;   in Loop: Header=BB1_2 Depth=1
	s_delay_alu instid0(VALU_DEP_1)
	v_add_nc_u32_e32 v10, 0x18000000, v10
; %bb.3779:                             ;   in Loop: Header=BB1_2 Depth=1
	s_or_b32 exec_lo, exec_lo, s93
.LBB1_3780:                             ;   in Loop: Header=BB1_2 Depth=1
	s_and_not1_saveexec_b32 s92, s92
; %bb.3781:                             ;   in Loop: Header=BB1_2 Depth=1
	s_delay_alu instid0(VALU_DEP_1)
	v_add_nc_u32_e32 v10, 0x1c000000, v10
; %bb.3782:                             ;   in Loop: Header=BB1_2 Depth=1
	s_or_b32 exec_lo, exec_lo, s92
.LBB1_3783:                             ;   in Loop: Header=BB1_2 Depth=1
	s_and_not1_saveexec_b32 s91, s91
; %bb.3784:                             ;   in Loop: Header=BB1_2 Depth=1
	s_delay_alu instid0(VALU_DEP_1)
	v_add_nc_u32_e32 v10, 0x20000000, v10
; %bb.3785:                             ;   in Loop: Header=BB1_2 Depth=1
	s_or_b32 exec_lo, exec_lo, s91
.LBB1_3786:                             ;   in Loop: Header=BB1_2 Depth=1
	s_and_not1_saveexec_b32 s90, s90
; %bb.3787:                             ;   in Loop: Header=BB1_2 Depth=1
	s_delay_alu instid0(VALU_DEP_1)
	v_add_nc_u32_e32 v10, 0x24000000, v10
; %bb.3788:                             ;   in Loop: Header=BB1_2 Depth=1
	s_or_b32 exec_lo, exec_lo, s90
.LBB1_3789:                             ;   in Loop: Header=BB1_2 Depth=1
	s_and_not1_saveexec_b32 s89, s89
; %bb.3790:                             ;   in Loop: Header=BB1_2 Depth=1
	s_delay_alu instid0(VALU_DEP_1)
	v_add_nc_u32_e32 v10, 0x28000000, v10
; %bb.3791:                             ;   in Loop: Header=BB1_2 Depth=1
	s_or_b32 exec_lo, exec_lo, s89
.LBB1_3792:                             ;   in Loop: Header=BB1_2 Depth=1
	s_and_not1_saveexec_b32 s88, s88
; %bb.3793:                             ;   in Loop: Header=BB1_2 Depth=1
	s_delay_alu instid0(VALU_DEP_1)
	v_add_nc_u32_e32 v10, 0x2c000000, v10
; %bb.3794:                             ;   in Loop: Header=BB1_2 Depth=1
	s_or_b32 exec_lo, exec_lo, s88
.LBB1_3795:                             ;   in Loop: Header=BB1_2 Depth=1
	s_and_not1_saveexec_b32 s87, s87
; %bb.3796:                             ;   in Loop: Header=BB1_2 Depth=1
	s_delay_alu instid0(VALU_DEP_1)
	v_add_nc_u32_e32 v10, 0x30000000, v10
; %bb.3797:                             ;   in Loop: Header=BB1_2 Depth=1
	s_or_b32 exec_lo, exec_lo, s87
.LBB1_3798:                             ;   in Loop: Header=BB1_2 Depth=1
	s_and_not1_saveexec_b32 s86, s86
; %bb.3799:                             ;   in Loop: Header=BB1_2 Depth=1
	s_delay_alu instid0(VALU_DEP_1)
	v_add_nc_u32_e32 v10, 0x34000000, v10
; %bb.3800:                             ;   in Loop: Header=BB1_2 Depth=1
	s_or_b32 exec_lo, exec_lo, s86
.LBB1_3801:                             ;   in Loop: Header=BB1_2 Depth=1
	s_and_not1_saveexec_b32 s85, s85
; %bb.3802:                             ;   in Loop: Header=BB1_2 Depth=1
	s_delay_alu instid0(VALU_DEP_1)
	v_add_nc_u32_e32 v10, 0x38000000, v10
; %bb.3803:                             ;   in Loop: Header=BB1_2 Depth=1
	s_or_b32 exec_lo, exec_lo, s85
.LBB1_3804:                             ;   in Loop: Header=BB1_2 Depth=1
	s_and_not1_saveexec_b32 s84, s84
; %bb.3805:                             ;   in Loop: Header=BB1_2 Depth=1
	s_delay_alu instid0(VALU_DEP_1)
	v_add_nc_u32_e32 v10, 0x3c000000, v10
; %bb.3806:                             ;   in Loop: Header=BB1_2 Depth=1
	s_or_b32 exec_lo, exec_lo, s84
.LBB1_3807:                             ;   in Loop: Header=BB1_2 Depth=1
	s_and_not1_saveexec_b32 s83, s83
; %bb.3808:                             ;   in Loop: Header=BB1_2 Depth=1
	s_delay_alu instid0(VALU_DEP_1)
	v_add_nc_u32_e32 v10, 2.0, v10
; %bb.3809:                             ;   in Loop: Header=BB1_2 Depth=1
	s_or_b32 exec_lo, exec_lo, s83
.LBB1_3810:                             ;   in Loop: Header=BB1_2 Depth=1
	s_and_not1_saveexec_b32 s82, s82
; %bb.3811:                             ;   in Loop: Header=BB1_2 Depth=1
	s_delay_alu instid0(VALU_DEP_1)
	v_add_nc_u32_e32 v10, 0x44000000, v10
; %bb.3812:                             ;   in Loop: Header=BB1_2 Depth=1
	s_or_b32 exec_lo, exec_lo, s82
.LBB1_3813:                             ;   in Loop: Header=BB1_2 Depth=1
	s_and_not1_saveexec_b32 s81, s81
; %bb.3814:                             ;   in Loop: Header=BB1_2 Depth=1
	s_delay_alu instid0(VALU_DEP_1)
	v_add_nc_u32_e32 v10, 0x48000000, v10
; %bb.3815:                             ;   in Loop: Header=BB1_2 Depth=1
	s_or_b32 exec_lo, exec_lo, s81
.LBB1_3816:                             ;   in Loop: Header=BB1_2 Depth=1
	s_and_not1_saveexec_b32 s80, s80
; %bb.3817:                             ;   in Loop: Header=BB1_2 Depth=1
	s_delay_alu instid0(VALU_DEP_1)
	v_add_nc_u32_e32 v10, 0x4c000000, v10
; %bb.3818:                             ;   in Loop: Header=BB1_2 Depth=1
	s_or_b32 exec_lo, exec_lo, s80
.LBB1_3819:                             ;   in Loop: Header=BB1_2 Depth=1
	s_and_not1_saveexec_b32 s79, s79
; %bb.3820:                             ;   in Loop: Header=BB1_2 Depth=1
	s_delay_alu instid0(VALU_DEP_1)
	v_add_nc_u32_e32 v10, 0x50000000, v10
; %bb.3821:                             ;   in Loop: Header=BB1_2 Depth=1
	s_or_b32 exec_lo, exec_lo, s79
.LBB1_3822:                             ;   in Loop: Header=BB1_2 Depth=1
	s_and_not1_saveexec_b32 s78, s78
; %bb.3823:                             ;   in Loop: Header=BB1_2 Depth=1
	s_delay_alu instid0(VALU_DEP_1)
	v_add_nc_u32_e32 v10, 0x54000000, v10
; %bb.3824:                             ;   in Loop: Header=BB1_2 Depth=1
	s_or_b32 exec_lo, exec_lo, s78
.LBB1_3825:                             ;   in Loop: Header=BB1_2 Depth=1
	s_and_not1_saveexec_b32 s77, s77
; %bb.3826:                             ;   in Loop: Header=BB1_2 Depth=1
	s_delay_alu instid0(VALU_DEP_1)
	v_add_nc_u32_e32 v10, 0x58000000, v10
; %bb.3827:                             ;   in Loop: Header=BB1_2 Depth=1
	s_or_b32 exec_lo, exec_lo, s77
.LBB1_3828:                             ;   in Loop: Header=BB1_2 Depth=1
	s_and_not1_saveexec_b32 s76, s76
; %bb.3829:                             ;   in Loop: Header=BB1_2 Depth=1
	s_delay_alu instid0(VALU_DEP_1)
	v_add_nc_u32_e32 v10, 0x5c000000, v10
; %bb.3830:                             ;   in Loop: Header=BB1_2 Depth=1
	s_or_b32 exec_lo, exec_lo, s76
.LBB1_3831:                             ;   in Loop: Header=BB1_2 Depth=1
	s_and_not1_saveexec_b32 s75, s75
; %bb.3832:                             ;   in Loop: Header=BB1_2 Depth=1
	s_delay_alu instid0(VALU_DEP_1)
	v_add_nc_u32_e32 v10, 0x60000000, v10
; %bb.3833:                             ;   in Loop: Header=BB1_2 Depth=1
	s_or_b32 exec_lo, exec_lo, s75
.LBB1_3834:                             ;   in Loop: Header=BB1_2 Depth=1
	s_and_not1_saveexec_b32 s74, s74
; %bb.3835:                             ;   in Loop: Header=BB1_2 Depth=1
	s_delay_alu instid0(VALU_DEP_1)
	v_add_nc_u32_e32 v10, 0x64000000, v10
; %bb.3836:                             ;   in Loop: Header=BB1_2 Depth=1
	s_or_b32 exec_lo, exec_lo, s74
.LBB1_3837:                             ;   in Loop: Header=BB1_2 Depth=1
	s_and_not1_saveexec_b32 s73, s73
; %bb.3838:                             ;   in Loop: Header=BB1_2 Depth=1
	s_delay_alu instid0(VALU_DEP_1)
	v_add_nc_u32_e32 v10, 0x68000000, v10
; %bb.3839:                             ;   in Loop: Header=BB1_2 Depth=1
	s_or_b32 exec_lo, exec_lo, s73
.LBB1_3840:                             ;   in Loop: Header=BB1_2 Depth=1
	s_and_not1_saveexec_b32 s72, s72
; %bb.3841:                             ;   in Loop: Header=BB1_2 Depth=1
	s_delay_alu instid0(VALU_DEP_1)
	v_add_nc_u32_e32 v10, 0x6c000000, v10
; %bb.3842:                             ;   in Loop: Header=BB1_2 Depth=1
	s_or_b32 exec_lo, exec_lo, s72
.LBB1_3843:                             ;   in Loop: Header=BB1_2 Depth=1
	s_and_not1_saveexec_b32 s35, s35
; %bb.3844:                             ;   in Loop: Header=BB1_2 Depth=1
	s_delay_alu instid0(VALU_DEP_1)
	v_add_nc_u32_e32 v10, 0x70000000, v10
; %bb.3845:                             ;   in Loop: Header=BB1_2 Depth=1
	s_or_b32 exec_lo, exec_lo, s35
.LBB1_3846:                             ;   in Loop: Header=BB1_2 Depth=1
	s_and_not1_saveexec_b32 s34, s34
; %bb.3847:                             ;   in Loop: Header=BB1_2 Depth=1
	s_delay_alu instid0(VALU_DEP_1)
	v_add_nc_u32_e32 v10, 0x74000000, v10
; %bb.3848:                             ;   in Loop: Header=BB1_2 Depth=1
	s_or_b32 exec_lo, exec_lo, s34
.LBB1_3849:                             ;   in Loop: Header=BB1_2 Depth=1
	s_and_not1_saveexec_b32 s33, s33
; %bb.3850:                             ;   in Loop: Header=BB1_2 Depth=1
	s_delay_alu instid0(VALU_DEP_1)
	v_add_nc_u32_e32 v10, 0x78000000, v10
; %bb.3851:                             ;   in Loop: Header=BB1_2 Depth=1
	s_or_b32 exec_lo, exec_lo, s33
.LBB1_3852:                             ;   in Loop: Header=BB1_2 Depth=1
	s_and_not1_saveexec_b32 s31, s31
; %bb.3853:                             ;   in Loop: Header=BB1_2 Depth=1
	s_delay_alu instid0(VALU_DEP_1)
	v_add_nc_u32_e32 v10, 0x7c000000, v10
; %bb.3854:                             ;   in Loop: Header=BB1_2 Depth=1
	s_or_b32 exec_lo, exec_lo, s31
	v_dual_mov_b32 v0, s1 :: v_dual_mov_b32 v9, 0x7c
	v_add3_u32 v11, v8, s30, 0x20000
	s_mov_b32 s31, exec_lo
	ds_load_2addr_b64 v[12:15], v0 offset0:108 offset1:109
	ds_load_b64 v[16:17], v0 offset:880
	global_store_b32 v11, v10, s[2:3] scale_offset
	s_wait_dscnt 0x1
	v_mul_f64_e32 v[0:1], v[4:5], v[14:15]
	s_delay_alu instid0(VALU_DEP_1) | instskip(SKIP_1) | instid1(VALU_DEP_1)
	v_fmac_f64_e32 v[0:1], v[2:3], v[12:13]
	s_wait_dscnt 0x0
	v_fmac_f64_e32 v[0:1], v[6:7], v[16:17]
	s_wait_xcnt 0x0
	s_delay_alu instid0(VALU_DEP_1)
	v_cmpx_ngt_f64_e32 s[28:29], v[0:1]
	s_cbranch_execz .LBB1_3916
; %bb.3855:                             ;   in Loop: Header=BB1_2 Depth=1
	v_mov_b32_e32 v9, 0x78
	s_mov_b32 s33, exec_lo
	v_cmpx_ngt_f64_e32 s[70:71], v[0:1]
	s_cbranch_execz .LBB1_3915
; %bb.3856:                             ;   in Loop: Header=BB1_2 Depth=1
	v_mov_b32_e32 v9, 0x74
	s_mov_b32 s34, exec_lo
	;; [unrolled: 5-line block ×30, first 2 shown]
	v_cmpx_gt_f64_e32 s[52:53], v[0:1]
; %bb.3885:                             ;   in Loop: Header=BB1_2 Depth=1
	v_mov_b32_e32 v9, 4
; %bb.3886:                             ;   in Loop: Header=BB1_2 Depth=1
	s_or_b32 exec_lo, exec_lo, s98
.LBB1_3887:                             ;   in Loop: Header=BB1_2 Depth=1
	s_delay_alu instid0(SALU_CYCLE_1)
	s_or_b32 exec_lo, exec_lo, s97
.LBB1_3888:                             ;   in Loop: Header=BB1_2 Depth=1
	s_delay_alu instid0(SALU_CYCLE_1)
	s_or_b32 exec_lo, exec_lo, s96
.LBB1_3889:                             ;   in Loop: Header=BB1_2 Depth=1
	s_delay_alu instid0(SALU_CYCLE_1)
	s_or_b32 exec_lo, exec_lo, s95
.LBB1_3890:                             ;   in Loop: Header=BB1_2 Depth=1
	s_delay_alu instid0(SALU_CYCLE_1)
	s_or_b32 exec_lo, exec_lo, s94
.LBB1_3891:                             ;   in Loop: Header=BB1_2 Depth=1
	s_delay_alu instid0(SALU_CYCLE_1)
	s_or_b32 exec_lo, exec_lo, s93
.LBB1_3892:                             ;   in Loop: Header=BB1_2 Depth=1
	s_delay_alu instid0(SALU_CYCLE_1)
	s_or_b32 exec_lo, exec_lo, s92
.LBB1_3893:                             ;   in Loop: Header=BB1_2 Depth=1
	s_delay_alu instid0(SALU_CYCLE_1)
	s_or_b32 exec_lo, exec_lo, s91
.LBB1_3894:                             ;   in Loop: Header=BB1_2 Depth=1
	s_delay_alu instid0(SALU_CYCLE_1)
	s_or_b32 exec_lo, exec_lo, s90
.LBB1_3895:                             ;   in Loop: Header=BB1_2 Depth=1
	s_delay_alu instid0(SALU_CYCLE_1)
	s_or_b32 exec_lo, exec_lo, s89
.LBB1_3896:                             ;   in Loop: Header=BB1_2 Depth=1
	s_delay_alu instid0(SALU_CYCLE_1)
	s_or_b32 exec_lo, exec_lo, s88
.LBB1_3897:                             ;   in Loop: Header=BB1_2 Depth=1
	s_delay_alu instid0(SALU_CYCLE_1)
	s_or_b32 exec_lo, exec_lo, s87
.LBB1_3898:                             ;   in Loop: Header=BB1_2 Depth=1
	s_delay_alu instid0(SALU_CYCLE_1)
	s_or_b32 exec_lo, exec_lo, s86
.LBB1_3899:                             ;   in Loop: Header=BB1_2 Depth=1
	s_delay_alu instid0(SALU_CYCLE_1)
	s_or_b32 exec_lo, exec_lo, s85
.LBB1_3900:                             ;   in Loop: Header=BB1_2 Depth=1
	s_delay_alu instid0(SALU_CYCLE_1)
	s_or_b32 exec_lo, exec_lo, s84
.LBB1_3901:                             ;   in Loop: Header=BB1_2 Depth=1
	s_delay_alu instid0(SALU_CYCLE_1)
	s_or_b32 exec_lo, exec_lo, s83
.LBB1_3902:                             ;   in Loop: Header=BB1_2 Depth=1
	s_delay_alu instid0(SALU_CYCLE_1)
	s_or_b32 exec_lo, exec_lo, s82
.LBB1_3903:                             ;   in Loop: Header=BB1_2 Depth=1
	s_delay_alu instid0(SALU_CYCLE_1)
	s_or_b32 exec_lo, exec_lo, s81
.LBB1_3904:                             ;   in Loop: Header=BB1_2 Depth=1
	s_delay_alu instid0(SALU_CYCLE_1)
	s_or_b32 exec_lo, exec_lo, s80
.LBB1_3905:                             ;   in Loop: Header=BB1_2 Depth=1
	s_delay_alu instid0(SALU_CYCLE_1)
	s_or_b32 exec_lo, exec_lo, s79
.LBB1_3906:                             ;   in Loop: Header=BB1_2 Depth=1
	s_delay_alu instid0(SALU_CYCLE_1)
	s_or_b32 exec_lo, exec_lo, s78
.LBB1_3907:                             ;   in Loop: Header=BB1_2 Depth=1
	s_delay_alu instid0(SALU_CYCLE_1)
	s_or_b32 exec_lo, exec_lo, s77
.LBB1_3908:                             ;   in Loop: Header=BB1_2 Depth=1
	s_delay_alu instid0(SALU_CYCLE_1)
	s_or_b32 exec_lo, exec_lo, s76
.LBB1_3909:                             ;   in Loop: Header=BB1_2 Depth=1
	s_delay_alu instid0(SALU_CYCLE_1)
	s_or_b32 exec_lo, exec_lo, s75
.LBB1_3910:                             ;   in Loop: Header=BB1_2 Depth=1
	s_delay_alu instid0(SALU_CYCLE_1)
	s_or_b32 exec_lo, exec_lo, s74
.LBB1_3911:                             ;   in Loop: Header=BB1_2 Depth=1
	s_delay_alu instid0(SALU_CYCLE_1)
	s_or_b32 exec_lo, exec_lo, s73
.LBB1_3912:                             ;   in Loop: Header=BB1_2 Depth=1
	s_delay_alu instid0(SALU_CYCLE_1)
	s_or_b32 exec_lo, exec_lo, s72
.LBB1_3913:                             ;   in Loop: Header=BB1_2 Depth=1
	s_delay_alu instid0(SALU_CYCLE_1)
	s_or_b32 exec_lo, exec_lo, s35
.LBB1_3914:                             ;   in Loop: Header=BB1_2 Depth=1
	s_delay_alu instid0(SALU_CYCLE_1)
	s_or_b32 exec_lo, exec_lo, s34
.LBB1_3915:                             ;   in Loop: Header=BB1_2 Depth=1
	s_delay_alu instid0(SALU_CYCLE_1)
	s_or_b32 exec_lo, exec_lo, s33
.LBB1_3916:                             ;   in Loop: Header=BB1_2 Depth=1
	s_delay_alu instid0(SALU_CYCLE_1)
	s_or_b32 exec_lo, exec_lo, s31
	v_mov_b32_e32 v0, s1
	s_mov_b32 s31, exec_lo
	ds_load_2addr_b64 v[10:13], v0 offset0:111 offset1:112
	ds_load_b64 v[14:15], v0 offset:904
	s_wait_dscnt 0x1
	v_mul_f64_e32 v[0:1], v[4:5], v[12:13]
	s_delay_alu instid0(VALU_DEP_1) | instskip(SKIP_1) | instid1(VALU_DEP_1)
	v_fmac_f64_e32 v[0:1], v[2:3], v[10:11]
	s_wait_dscnt 0x0
	v_fmac_f64_e32 v[0:1], v[6:7], v[14:15]
	s_delay_alu instid0(VALU_DEP_1)
	v_cmpx_ngt_f64_e32 s[28:29], v[0:1]
	s_xor_b32 s31, exec_lo, s31
	s_cbranch_execz .LBB1_4036
; %bb.3917:                             ;   in Loop: Header=BB1_2 Depth=1
	s_mov_b32 s33, exec_lo
	v_cmpx_ngt_f64_e32 s[70:71], v[0:1]
	s_xor_b32 s33, exec_lo, s33
	s_cbranch_execz .LBB1_4033
; %bb.3918:                             ;   in Loop: Header=BB1_2 Depth=1
	s_mov_b32 s34, exec_lo
	;; [unrolled: 5-line block ×30, first 2 shown]
	v_cmpx_gt_f64_e32 s[52:53], v[0:1]
; %bb.3947:                             ;   in Loop: Header=BB1_2 Depth=1
	v_or_b32_e32 v9, 0x400, v9
; %bb.3948:                             ;   in Loop: Header=BB1_2 Depth=1
	s_or_b32 exec_lo, exec_lo, s98
.LBB1_3949:                             ;   in Loop: Header=BB1_2 Depth=1
	s_and_not1_saveexec_b32 s97, s97
; %bb.3950:                             ;   in Loop: Header=BB1_2 Depth=1
	s_delay_alu instid0(VALU_DEP_1)
	v_or_b32_e32 v9, 0x800, v9
; %bb.3951:                             ;   in Loop: Header=BB1_2 Depth=1
	s_or_b32 exec_lo, exec_lo, s97
.LBB1_3952:                             ;   in Loop: Header=BB1_2 Depth=1
	s_and_not1_saveexec_b32 s96, s96
; %bb.3953:                             ;   in Loop: Header=BB1_2 Depth=1
	s_delay_alu instid0(VALU_DEP_1)
	v_or_b32_e32 v9, 0xc00, v9
; %bb.3954:                             ;   in Loop: Header=BB1_2 Depth=1
	s_or_b32 exec_lo, exec_lo, s96
.LBB1_3955:                             ;   in Loop: Header=BB1_2 Depth=1
	s_and_not1_saveexec_b32 s95, s95
; %bb.3956:                             ;   in Loop: Header=BB1_2 Depth=1
	s_delay_alu instid0(VALU_DEP_1)
	v_or_b32_e32 v9, 0x1000, v9
; %bb.3957:                             ;   in Loop: Header=BB1_2 Depth=1
	s_or_b32 exec_lo, exec_lo, s95
.LBB1_3958:                             ;   in Loop: Header=BB1_2 Depth=1
	s_and_not1_saveexec_b32 s94, s94
; %bb.3959:                             ;   in Loop: Header=BB1_2 Depth=1
	s_delay_alu instid0(VALU_DEP_1)
	v_or_b32_e32 v9, 0x1400, v9
; %bb.3960:                             ;   in Loop: Header=BB1_2 Depth=1
	s_or_b32 exec_lo, exec_lo, s94
.LBB1_3961:                             ;   in Loop: Header=BB1_2 Depth=1
	s_and_not1_saveexec_b32 s93, s93
; %bb.3962:                             ;   in Loop: Header=BB1_2 Depth=1
	s_delay_alu instid0(VALU_DEP_1)
	v_or_b32_e32 v9, 0x1800, v9
; %bb.3963:                             ;   in Loop: Header=BB1_2 Depth=1
	s_or_b32 exec_lo, exec_lo, s93
.LBB1_3964:                             ;   in Loop: Header=BB1_2 Depth=1
	s_and_not1_saveexec_b32 s92, s92
; %bb.3965:                             ;   in Loop: Header=BB1_2 Depth=1
	s_delay_alu instid0(VALU_DEP_1)
	v_or_b32_e32 v9, 0x1c00, v9
; %bb.3966:                             ;   in Loop: Header=BB1_2 Depth=1
	s_or_b32 exec_lo, exec_lo, s92
.LBB1_3967:                             ;   in Loop: Header=BB1_2 Depth=1
	s_and_not1_saveexec_b32 s91, s91
; %bb.3968:                             ;   in Loop: Header=BB1_2 Depth=1
	s_delay_alu instid0(VALU_DEP_1)
	v_or_b32_e32 v9, 0x2000, v9
; %bb.3969:                             ;   in Loop: Header=BB1_2 Depth=1
	s_or_b32 exec_lo, exec_lo, s91
.LBB1_3970:                             ;   in Loop: Header=BB1_2 Depth=1
	s_and_not1_saveexec_b32 s90, s90
; %bb.3971:                             ;   in Loop: Header=BB1_2 Depth=1
	s_delay_alu instid0(VALU_DEP_1)
	v_or_b32_e32 v9, 0x2400, v9
; %bb.3972:                             ;   in Loop: Header=BB1_2 Depth=1
	s_or_b32 exec_lo, exec_lo, s90
.LBB1_3973:                             ;   in Loop: Header=BB1_2 Depth=1
	s_and_not1_saveexec_b32 s89, s89
; %bb.3974:                             ;   in Loop: Header=BB1_2 Depth=1
	s_delay_alu instid0(VALU_DEP_1)
	v_or_b32_e32 v9, 0x2800, v9
; %bb.3975:                             ;   in Loop: Header=BB1_2 Depth=1
	s_or_b32 exec_lo, exec_lo, s89
.LBB1_3976:                             ;   in Loop: Header=BB1_2 Depth=1
	s_and_not1_saveexec_b32 s88, s88
; %bb.3977:                             ;   in Loop: Header=BB1_2 Depth=1
	s_delay_alu instid0(VALU_DEP_1)
	v_or_b32_e32 v9, 0x2c00, v9
; %bb.3978:                             ;   in Loop: Header=BB1_2 Depth=1
	s_or_b32 exec_lo, exec_lo, s88
.LBB1_3979:                             ;   in Loop: Header=BB1_2 Depth=1
	s_and_not1_saveexec_b32 s87, s87
; %bb.3980:                             ;   in Loop: Header=BB1_2 Depth=1
	s_delay_alu instid0(VALU_DEP_1)
	v_or_b32_e32 v9, 0x3000, v9
; %bb.3981:                             ;   in Loop: Header=BB1_2 Depth=1
	s_or_b32 exec_lo, exec_lo, s87
.LBB1_3982:                             ;   in Loop: Header=BB1_2 Depth=1
	s_and_not1_saveexec_b32 s86, s86
; %bb.3983:                             ;   in Loop: Header=BB1_2 Depth=1
	s_delay_alu instid0(VALU_DEP_1)
	v_or_b32_e32 v9, 0x3400, v9
; %bb.3984:                             ;   in Loop: Header=BB1_2 Depth=1
	s_or_b32 exec_lo, exec_lo, s86
.LBB1_3985:                             ;   in Loop: Header=BB1_2 Depth=1
	s_and_not1_saveexec_b32 s85, s85
; %bb.3986:                             ;   in Loop: Header=BB1_2 Depth=1
	s_delay_alu instid0(VALU_DEP_1)
	v_or_b32_e32 v9, 0x3800, v9
; %bb.3987:                             ;   in Loop: Header=BB1_2 Depth=1
	s_or_b32 exec_lo, exec_lo, s85
.LBB1_3988:                             ;   in Loop: Header=BB1_2 Depth=1
	s_and_not1_saveexec_b32 s84, s84
; %bb.3989:                             ;   in Loop: Header=BB1_2 Depth=1
	s_delay_alu instid0(VALU_DEP_1)
	v_or_b32_e32 v9, 0x3c00, v9
; %bb.3990:                             ;   in Loop: Header=BB1_2 Depth=1
	s_or_b32 exec_lo, exec_lo, s84
.LBB1_3991:                             ;   in Loop: Header=BB1_2 Depth=1
	s_and_not1_saveexec_b32 s83, s83
; %bb.3992:                             ;   in Loop: Header=BB1_2 Depth=1
	s_delay_alu instid0(VALU_DEP_1)
	v_or_b32_e32 v9, 0x4000, v9
; %bb.3993:                             ;   in Loop: Header=BB1_2 Depth=1
	s_or_b32 exec_lo, exec_lo, s83
.LBB1_3994:                             ;   in Loop: Header=BB1_2 Depth=1
	s_and_not1_saveexec_b32 s82, s82
; %bb.3995:                             ;   in Loop: Header=BB1_2 Depth=1
	s_delay_alu instid0(VALU_DEP_1)
	v_or_b32_e32 v9, 0x4400, v9
; %bb.3996:                             ;   in Loop: Header=BB1_2 Depth=1
	s_or_b32 exec_lo, exec_lo, s82
.LBB1_3997:                             ;   in Loop: Header=BB1_2 Depth=1
	s_and_not1_saveexec_b32 s81, s81
; %bb.3998:                             ;   in Loop: Header=BB1_2 Depth=1
	s_delay_alu instid0(VALU_DEP_1)
	v_or_b32_e32 v9, 0x4800, v9
; %bb.3999:                             ;   in Loop: Header=BB1_2 Depth=1
	s_or_b32 exec_lo, exec_lo, s81
.LBB1_4000:                             ;   in Loop: Header=BB1_2 Depth=1
	s_and_not1_saveexec_b32 s80, s80
; %bb.4001:                             ;   in Loop: Header=BB1_2 Depth=1
	s_delay_alu instid0(VALU_DEP_1)
	v_or_b32_e32 v9, 0x4c00, v9
; %bb.4002:                             ;   in Loop: Header=BB1_2 Depth=1
	s_or_b32 exec_lo, exec_lo, s80
.LBB1_4003:                             ;   in Loop: Header=BB1_2 Depth=1
	s_and_not1_saveexec_b32 s79, s79
; %bb.4004:                             ;   in Loop: Header=BB1_2 Depth=1
	s_delay_alu instid0(VALU_DEP_1)
	v_or_b32_e32 v9, 0x5000, v9
; %bb.4005:                             ;   in Loop: Header=BB1_2 Depth=1
	s_or_b32 exec_lo, exec_lo, s79
.LBB1_4006:                             ;   in Loop: Header=BB1_2 Depth=1
	s_and_not1_saveexec_b32 s78, s78
; %bb.4007:                             ;   in Loop: Header=BB1_2 Depth=1
	s_delay_alu instid0(VALU_DEP_1)
	v_or_b32_e32 v9, 0x5400, v9
; %bb.4008:                             ;   in Loop: Header=BB1_2 Depth=1
	s_or_b32 exec_lo, exec_lo, s78
.LBB1_4009:                             ;   in Loop: Header=BB1_2 Depth=1
	s_and_not1_saveexec_b32 s77, s77
; %bb.4010:                             ;   in Loop: Header=BB1_2 Depth=1
	s_delay_alu instid0(VALU_DEP_1)
	v_or_b32_e32 v9, 0x5800, v9
; %bb.4011:                             ;   in Loop: Header=BB1_2 Depth=1
	s_or_b32 exec_lo, exec_lo, s77
.LBB1_4012:                             ;   in Loop: Header=BB1_2 Depth=1
	s_and_not1_saveexec_b32 s76, s76
; %bb.4013:                             ;   in Loop: Header=BB1_2 Depth=1
	s_delay_alu instid0(VALU_DEP_1)
	v_or_b32_e32 v9, 0x5c00, v9
; %bb.4014:                             ;   in Loop: Header=BB1_2 Depth=1
	s_or_b32 exec_lo, exec_lo, s76
.LBB1_4015:                             ;   in Loop: Header=BB1_2 Depth=1
	s_and_not1_saveexec_b32 s75, s75
; %bb.4016:                             ;   in Loop: Header=BB1_2 Depth=1
	s_delay_alu instid0(VALU_DEP_1)
	v_or_b32_e32 v9, 0x6000, v9
; %bb.4017:                             ;   in Loop: Header=BB1_2 Depth=1
	s_or_b32 exec_lo, exec_lo, s75
.LBB1_4018:                             ;   in Loop: Header=BB1_2 Depth=1
	s_and_not1_saveexec_b32 s74, s74
; %bb.4019:                             ;   in Loop: Header=BB1_2 Depth=1
	s_delay_alu instid0(VALU_DEP_1)
	v_or_b32_e32 v9, 0x6400, v9
; %bb.4020:                             ;   in Loop: Header=BB1_2 Depth=1
	s_or_b32 exec_lo, exec_lo, s74
.LBB1_4021:                             ;   in Loop: Header=BB1_2 Depth=1
	s_and_not1_saveexec_b32 s73, s73
; %bb.4022:                             ;   in Loop: Header=BB1_2 Depth=1
	s_delay_alu instid0(VALU_DEP_1)
	v_or_b32_e32 v9, 0x6800, v9
; %bb.4023:                             ;   in Loop: Header=BB1_2 Depth=1
	s_or_b32 exec_lo, exec_lo, s73
.LBB1_4024:                             ;   in Loop: Header=BB1_2 Depth=1
	s_and_not1_saveexec_b32 s72, s72
; %bb.4025:                             ;   in Loop: Header=BB1_2 Depth=1
	s_delay_alu instid0(VALU_DEP_1)
	v_or_b32_e32 v9, 0x6c00, v9
; %bb.4026:                             ;   in Loop: Header=BB1_2 Depth=1
	s_or_b32 exec_lo, exec_lo, s72
.LBB1_4027:                             ;   in Loop: Header=BB1_2 Depth=1
	s_and_not1_saveexec_b32 s35, s35
; %bb.4028:                             ;   in Loop: Header=BB1_2 Depth=1
	s_delay_alu instid0(VALU_DEP_1)
	v_or_b32_e32 v9, 0x7000, v9
; %bb.4029:                             ;   in Loop: Header=BB1_2 Depth=1
	s_or_b32 exec_lo, exec_lo, s35
.LBB1_4030:                             ;   in Loop: Header=BB1_2 Depth=1
	s_and_not1_saveexec_b32 s34, s34
; %bb.4031:                             ;   in Loop: Header=BB1_2 Depth=1
	s_delay_alu instid0(VALU_DEP_1)
	v_or_b32_e32 v9, 0x7400, v9
; %bb.4032:                             ;   in Loop: Header=BB1_2 Depth=1
	s_or_b32 exec_lo, exec_lo, s34
.LBB1_4033:                             ;   in Loop: Header=BB1_2 Depth=1
	s_and_not1_saveexec_b32 s33, s33
; %bb.4034:                             ;   in Loop: Header=BB1_2 Depth=1
	s_delay_alu instid0(VALU_DEP_1)
	v_or_b32_e32 v9, 0x7800, v9
; %bb.4035:                             ;   in Loop: Header=BB1_2 Depth=1
	s_or_b32 exec_lo, exec_lo, s33
.LBB1_4036:                             ;   in Loop: Header=BB1_2 Depth=1
	s_and_not1_saveexec_b32 s31, s31
; %bb.4037:                             ;   in Loop: Header=BB1_2 Depth=1
	s_delay_alu instid0(VALU_DEP_1)
	v_or_b32_e32 v9, 0x7c00, v9
; %bb.4038:                             ;   in Loop: Header=BB1_2 Depth=1
	s_or_b32 exec_lo, exec_lo, s31
	v_mov_b32_e32 v0, s1
	s_mov_b32 s31, exec_lo
	ds_load_2addr_b64 v[10:13], v0 offset0:114 offset1:115
	ds_load_b64 v[14:15], v0 offset:928
	s_wait_dscnt 0x1
	v_mul_f64_e32 v[0:1], v[4:5], v[12:13]
	s_delay_alu instid0(VALU_DEP_1) | instskip(SKIP_1) | instid1(VALU_DEP_1)
	v_fmac_f64_e32 v[0:1], v[2:3], v[10:11]
	s_wait_dscnt 0x0
	v_fmac_f64_e32 v[0:1], v[6:7], v[14:15]
	s_delay_alu instid0(VALU_DEP_1)
	v_cmpx_ngt_f64_e32 s[28:29], v[0:1]
	s_xor_b32 s31, exec_lo, s31
	s_cbranch_execz .LBB1_4158
; %bb.4039:                             ;   in Loop: Header=BB1_2 Depth=1
	s_mov_b32 s33, exec_lo
	v_cmpx_ngt_f64_e32 s[70:71], v[0:1]
	s_xor_b32 s33, exec_lo, s33
	s_cbranch_execz .LBB1_4155
; %bb.4040:                             ;   in Loop: Header=BB1_2 Depth=1
	s_mov_b32 s34, exec_lo
	;; [unrolled: 5-line block ×30, first 2 shown]
	v_cmpx_gt_f64_e32 s[52:53], v[0:1]
; %bb.4069:                             ;   in Loop: Header=BB1_2 Depth=1
	v_add_nc_u32_e32 v9, 0x40000, v9
; %bb.4070:                             ;   in Loop: Header=BB1_2 Depth=1
	s_or_b32 exec_lo, exec_lo, s98
.LBB1_4071:                             ;   in Loop: Header=BB1_2 Depth=1
	s_and_not1_saveexec_b32 s97, s97
; %bb.4072:                             ;   in Loop: Header=BB1_2 Depth=1
	s_delay_alu instid0(VALU_DEP_1)
	v_add_nc_u32_e32 v9, 0x80000, v9
; %bb.4073:                             ;   in Loop: Header=BB1_2 Depth=1
	s_or_b32 exec_lo, exec_lo, s97
.LBB1_4074:                             ;   in Loop: Header=BB1_2 Depth=1
	s_and_not1_saveexec_b32 s96, s96
; %bb.4075:                             ;   in Loop: Header=BB1_2 Depth=1
	s_delay_alu instid0(VALU_DEP_1)
	v_add_nc_u32_e32 v9, 0xc0000, v9
; %bb.4076:                             ;   in Loop: Header=BB1_2 Depth=1
	s_or_b32 exec_lo, exec_lo, s96
.LBB1_4077:                             ;   in Loop: Header=BB1_2 Depth=1
	s_and_not1_saveexec_b32 s95, s95
; %bb.4078:                             ;   in Loop: Header=BB1_2 Depth=1
	s_delay_alu instid0(VALU_DEP_1)
	v_add_nc_u32_e32 v9, 0x100000, v9
; %bb.4079:                             ;   in Loop: Header=BB1_2 Depth=1
	s_or_b32 exec_lo, exec_lo, s95
.LBB1_4080:                             ;   in Loop: Header=BB1_2 Depth=1
	s_and_not1_saveexec_b32 s94, s94
; %bb.4081:                             ;   in Loop: Header=BB1_2 Depth=1
	s_delay_alu instid0(VALU_DEP_1)
	v_add_nc_u32_e32 v9, 0x140000, v9
; %bb.4082:                             ;   in Loop: Header=BB1_2 Depth=1
	s_or_b32 exec_lo, exec_lo, s94
.LBB1_4083:                             ;   in Loop: Header=BB1_2 Depth=1
	s_and_not1_saveexec_b32 s93, s93
; %bb.4084:                             ;   in Loop: Header=BB1_2 Depth=1
	s_delay_alu instid0(VALU_DEP_1)
	v_add_nc_u32_e32 v9, 0x180000, v9
; %bb.4085:                             ;   in Loop: Header=BB1_2 Depth=1
	s_or_b32 exec_lo, exec_lo, s93
.LBB1_4086:                             ;   in Loop: Header=BB1_2 Depth=1
	s_and_not1_saveexec_b32 s92, s92
; %bb.4087:                             ;   in Loop: Header=BB1_2 Depth=1
	s_delay_alu instid0(VALU_DEP_1)
	v_add_nc_u32_e32 v9, 0x1c0000, v9
; %bb.4088:                             ;   in Loop: Header=BB1_2 Depth=1
	s_or_b32 exec_lo, exec_lo, s92
.LBB1_4089:                             ;   in Loop: Header=BB1_2 Depth=1
	s_and_not1_saveexec_b32 s91, s91
; %bb.4090:                             ;   in Loop: Header=BB1_2 Depth=1
	s_delay_alu instid0(VALU_DEP_1)
	v_add_nc_u32_e32 v9, 0x200000, v9
; %bb.4091:                             ;   in Loop: Header=BB1_2 Depth=1
	s_or_b32 exec_lo, exec_lo, s91
.LBB1_4092:                             ;   in Loop: Header=BB1_2 Depth=1
	s_and_not1_saveexec_b32 s90, s90
; %bb.4093:                             ;   in Loop: Header=BB1_2 Depth=1
	s_delay_alu instid0(VALU_DEP_1)
	v_add_nc_u32_e32 v9, 0x240000, v9
; %bb.4094:                             ;   in Loop: Header=BB1_2 Depth=1
	s_or_b32 exec_lo, exec_lo, s90
.LBB1_4095:                             ;   in Loop: Header=BB1_2 Depth=1
	s_and_not1_saveexec_b32 s89, s89
; %bb.4096:                             ;   in Loop: Header=BB1_2 Depth=1
	s_delay_alu instid0(VALU_DEP_1)
	v_add_nc_u32_e32 v9, 0x280000, v9
; %bb.4097:                             ;   in Loop: Header=BB1_2 Depth=1
	s_or_b32 exec_lo, exec_lo, s89
.LBB1_4098:                             ;   in Loop: Header=BB1_2 Depth=1
	s_and_not1_saveexec_b32 s88, s88
; %bb.4099:                             ;   in Loop: Header=BB1_2 Depth=1
	s_delay_alu instid0(VALU_DEP_1)
	v_add_nc_u32_e32 v9, 0x2c0000, v9
; %bb.4100:                             ;   in Loop: Header=BB1_2 Depth=1
	s_or_b32 exec_lo, exec_lo, s88
.LBB1_4101:                             ;   in Loop: Header=BB1_2 Depth=1
	s_and_not1_saveexec_b32 s87, s87
; %bb.4102:                             ;   in Loop: Header=BB1_2 Depth=1
	s_delay_alu instid0(VALU_DEP_1)
	v_add_nc_u32_e32 v9, 0x300000, v9
; %bb.4103:                             ;   in Loop: Header=BB1_2 Depth=1
	s_or_b32 exec_lo, exec_lo, s87
.LBB1_4104:                             ;   in Loop: Header=BB1_2 Depth=1
	s_and_not1_saveexec_b32 s86, s86
; %bb.4105:                             ;   in Loop: Header=BB1_2 Depth=1
	s_delay_alu instid0(VALU_DEP_1)
	v_add_nc_u32_e32 v9, 0x340000, v9
; %bb.4106:                             ;   in Loop: Header=BB1_2 Depth=1
	s_or_b32 exec_lo, exec_lo, s86
.LBB1_4107:                             ;   in Loop: Header=BB1_2 Depth=1
	s_and_not1_saveexec_b32 s85, s85
; %bb.4108:                             ;   in Loop: Header=BB1_2 Depth=1
	s_delay_alu instid0(VALU_DEP_1)
	v_add_nc_u32_e32 v9, 0x380000, v9
; %bb.4109:                             ;   in Loop: Header=BB1_2 Depth=1
	s_or_b32 exec_lo, exec_lo, s85
.LBB1_4110:                             ;   in Loop: Header=BB1_2 Depth=1
	s_and_not1_saveexec_b32 s84, s84
; %bb.4111:                             ;   in Loop: Header=BB1_2 Depth=1
	s_delay_alu instid0(VALU_DEP_1)
	v_add_nc_u32_e32 v9, 0x3c0000, v9
; %bb.4112:                             ;   in Loop: Header=BB1_2 Depth=1
	s_or_b32 exec_lo, exec_lo, s84
.LBB1_4113:                             ;   in Loop: Header=BB1_2 Depth=1
	s_and_not1_saveexec_b32 s83, s83
; %bb.4114:                             ;   in Loop: Header=BB1_2 Depth=1
	s_delay_alu instid0(VALU_DEP_1)
	v_add_nc_u32_e32 v9, 0x400000, v9
; %bb.4115:                             ;   in Loop: Header=BB1_2 Depth=1
	s_or_b32 exec_lo, exec_lo, s83
.LBB1_4116:                             ;   in Loop: Header=BB1_2 Depth=1
	s_and_not1_saveexec_b32 s82, s82
; %bb.4117:                             ;   in Loop: Header=BB1_2 Depth=1
	s_delay_alu instid0(VALU_DEP_1)
	v_add_nc_u32_e32 v9, 0x440000, v9
; %bb.4118:                             ;   in Loop: Header=BB1_2 Depth=1
	s_or_b32 exec_lo, exec_lo, s82
.LBB1_4119:                             ;   in Loop: Header=BB1_2 Depth=1
	s_and_not1_saveexec_b32 s81, s81
; %bb.4120:                             ;   in Loop: Header=BB1_2 Depth=1
	s_delay_alu instid0(VALU_DEP_1)
	v_add_nc_u32_e32 v9, 0x480000, v9
; %bb.4121:                             ;   in Loop: Header=BB1_2 Depth=1
	s_or_b32 exec_lo, exec_lo, s81
.LBB1_4122:                             ;   in Loop: Header=BB1_2 Depth=1
	s_and_not1_saveexec_b32 s80, s80
; %bb.4123:                             ;   in Loop: Header=BB1_2 Depth=1
	s_delay_alu instid0(VALU_DEP_1)
	v_add_nc_u32_e32 v9, 0x4c0000, v9
; %bb.4124:                             ;   in Loop: Header=BB1_2 Depth=1
	s_or_b32 exec_lo, exec_lo, s80
.LBB1_4125:                             ;   in Loop: Header=BB1_2 Depth=1
	s_and_not1_saveexec_b32 s79, s79
; %bb.4126:                             ;   in Loop: Header=BB1_2 Depth=1
	s_delay_alu instid0(VALU_DEP_1)
	v_add_nc_u32_e32 v9, 0x500000, v9
; %bb.4127:                             ;   in Loop: Header=BB1_2 Depth=1
	s_or_b32 exec_lo, exec_lo, s79
.LBB1_4128:                             ;   in Loop: Header=BB1_2 Depth=1
	s_and_not1_saveexec_b32 s78, s78
; %bb.4129:                             ;   in Loop: Header=BB1_2 Depth=1
	s_delay_alu instid0(VALU_DEP_1)
	v_add_nc_u32_e32 v9, 0x540000, v9
; %bb.4130:                             ;   in Loop: Header=BB1_2 Depth=1
	s_or_b32 exec_lo, exec_lo, s78
.LBB1_4131:                             ;   in Loop: Header=BB1_2 Depth=1
	s_and_not1_saveexec_b32 s77, s77
; %bb.4132:                             ;   in Loop: Header=BB1_2 Depth=1
	s_delay_alu instid0(VALU_DEP_1)
	v_add_nc_u32_e32 v9, 0x580000, v9
; %bb.4133:                             ;   in Loop: Header=BB1_2 Depth=1
	s_or_b32 exec_lo, exec_lo, s77
.LBB1_4134:                             ;   in Loop: Header=BB1_2 Depth=1
	s_and_not1_saveexec_b32 s76, s76
; %bb.4135:                             ;   in Loop: Header=BB1_2 Depth=1
	s_delay_alu instid0(VALU_DEP_1)
	v_add_nc_u32_e32 v9, 0x5c0000, v9
; %bb.4136:                             ;   in Loop: Header=BB1_2 Depth=1
	s_or_b32 exec_lo, exec_lo, s76
.LBB1_4137:                             ;   in Loop: Header=BB1_2 Depth=1
	s_and_not1_saveexec_b32 s75, s75
; %bb.4138:                             ;   in Loop: Header=BB1_2 Depth=1
	s_delay_alu instid0(VALU_DEP_1)
	v_add_nc_u32_e32 v9, 0x600000, v9
; %bb.4139:                             ;   in Loop: Header=BB1_2 Depth=1
	s_or_b32 exec_lo, exec_lo, s75
.LBB1_4140:                             ;   in Loop: Header=BB1_2 Depth=1
	s_and_not1_saveexec_b32 s74, s74
; %bb.4141:                             ;   in Loop: Header=BB1_2 Depth=1
	s_delay_alu instid0(VALU_DEP_1)
	v_add_nc_u32_e32 v9, 0x640000, v9
; %bb.4142:                             ;   in Loop: Header=BB1_2 Depth=1
	s_or_b32 exec_lo, exec_lo, s74
.LBB1_4143:                             ;   in Loop: Header=BB1_2 Depth=1
	s_and_not1_saveexec_b32 s73, s73
; %bb.4144:                             ;   in Loop: Header=BB1_2 Depth=1
	s_delay_alu instid0(VALU_DEP_1)
	v_add_nc_u32_e32 v9, 0x680000, v9
; %bb.4145:                             ;   in Loop: Header=BB1_2 Depth=1
	s_or_b32 exec_lo, exec_lo, s73
.LBB1_4146:                             ;   in Loop: Header=BB1_2 Depth=1
	s_and_not1_saveexec_b32 s72, s72
; %bb.4147:                             ;   in Loop: Header=BB1_2 Depth=1
	s_delay_alu instid0(VALU_DEP_1)
	v_add_nc_u32_e32 v9, 0x6c0000, v9
; %bb.4148:                             ;   in Loop: Header=BB1_2 Depth=1
	s_or_b32 exec_lo, exec_lo, s72
.LBB1_4149:                             ;   in Loop: Header=BB1_2 Depth=1
	s_and_not1_saveexec_b32 s35, s35
; %bb.4150:                             ;   in Loop: Header=BB1_2 Depth=1
	s_delay_alu instid0(VALU_DEP_1)
	v_add_nc_u32_e32 v9, 0x700000, v9
; %bb.4151:                             ;   in Loop: Header=BB1_2 Depth=1
	s_or_b32 exec_lo, exec_lo, s35
.LBB1_4152:                             ;   in Loop: Header=BB1_2 Depth=1
	s_and_not1_saveexec_b32 s34, s34
; %bb.4153:                             ;   in Loop: Header=BB1_2 Depth=1
	s_delay_alu instid0(VALU_DEP_1)
	v_add_nc_u32_e32 v9, 0x740000, v9
; %bb.4154:                             ;   in Loop: Header=BB1_2 Depth=1
	s_or_b32 exec_lo, exec_lo, s34
.LBB1_4155:                             ;   in Loop: Header=BB1_2 Depth=1
	s_and_not1_saveexec_b32 s33, s33
; %bb.4156:                             ;   in Loop: Header=BB1_2 Depth=1
	s_delay_alu instid0(VALU_DEP_1)
	v_add_nc_u32_e32 v9, 0x780000, v9
; %bb.4157:                             ;   in Loop: Header=BB1_2 Depth=1
	s_or_b32 exec_lo, exec_lo, s33
.LBB1_4158:                             ;   in Loop: Header=BB1_2 Depth=1
	s_and_not1_saveexec_b32 s31, s31
; %bb.4159:                             ;   in Loop: Header=BB1_2 Depth=1
	s_delay_alu instid0(VALU_DEP_1)
	v_add_nc_u32_e32 v9, 0x7c0000, v9
; %bb.4160:                             ;   in Loop: Header=BB1_2 Depth=1
	s_or_b32 exec_lo, exec_lo, s31
	v_mov_b32_e32 v0, s1
	s_mov_b32 s31, exec_lo
	ds_load_2addr_b64 v[10:13], v0 offset0:117 offset1:118
	ds_load_b64 v[14:15], v0 offset:952
	s_wait_dscnt 0x1
	v_mul_f64_e32 v[0:1], v[4:5], v[12:13]
	s_delay_alu instid0(VALU_DEP_1) | instskip(SKIP_1) | instid1(VALU_DEP_1)
	v_fmac_f64_e32 v[0:1], v[2:3], v[10:11]
	s_wait_dscnt 0x0
	v_fmac_f64_e32 v[0:1], v[6:7], v[14:15]
	s_delay_alu instid0(VALU_DEP_1)
	v_cmpx_ngt_f64_e32 s[28:29], v[0:1]
	s_xor_b32 s31, exec_lo, s31
	s_cbranch_execz .LBB1_4280
; %bb.4161:                             ;   in Loop: Header=BB1_2 Depth=1
	s_mov_b32 s33, exec_lo
	v_cmpx_ngt_f64_e32 s[70:71], v[0:1]
	s_xor_b32 s33, exec_lo, s33
	s_cbranch_execz .LBB1_4277
; %bb.4162:                             ;   in Loop: Header=BB1_2 Depth=1
	s_mov_b32 s34, exec_lo
	;; [unrolled: 5-line block ×30, first 2 shown]
	v_cmpx_gt_f64_e32 s[52:53], v[0:1]
; %bb.4191:                             ;   in Loop: Header=BB1_2 Depth=1
	v_add_nc_u32_e32 v9, 0x4000000, v9
; %bb.4192:                             ;   in Loop: Header=BB1_2 Depth=1
	s_or_b32 exec_lo, exec_lo, s98
.LBB1_4193:                             ;   in Loop: Header=BB1_2 Depth=1
	s_and_not1_saveexec_b32 s97, s97
; %bb.4194:                             ;   in Loop: Header=BB1_2 Depth=1
	s_delay_alu instid0(VALU_DEP_1)
	v_add_nc_u32_e32 v9, 0x8000000, v9
; %bb.4195:                             ;   in Loop: Header=BB1_2 Depth=1
	s_or_b32 exec_lo, exec_lo, s97
.LBB1_4196:                             ;   in Loop: Header=BB1_2 Depth=1
	s_and_not1_saveexec_b32 s96, s96
; %bb.4197:                             ;   in Loop: Header=BB1_2 Depth=1
	s_delay_alu instid0(VALU_DEP_1)
	v_add_nc_u32_e32 v9, 0xc000000, v9
; %bb.4198:                             ;   in Loop: Header=BB1_2 Depth=1
	s_or_b32 exec_lo, exec_lo, s96
.LBB1_4199:                             ;   in Loop: Header=BB1_2 Depth=1
	s_and_not1_saveexec_b32 s95, s95
; %bb.4200:                             ;   in Loop: Header=BB1_2 Depth=1
	s_delay_alu instid0(VALU_DEP_1)
	v_add_nc_u32_e32 v9, 0x10000000, v9
; %bb.4201:                             ;   in Loop: Header=BB1_2 Depth=1
	s_or_b32 exec_lo, exec_lo, s95
.LBB1_4202:                             ;   in Loop: Header=BB1_2 Depth=1
	s_and_not1_saveexec_b32 s94, s94
; %bb.4203:                             ;   in Loop: Header=BB1_2 Depth=1
	s_delay_alu instid0(VALU_DEP_1)
	v_add_nc_u32_e32 v9, 0x14000000, v9
; %bb.4204:                             ;   in Loop: Header=BB1_2 Depth=1
	s_or_b32 exec_lo, exec_lo, s94
.LBB1_4205:                             ;   in Loop: Header=BB1_2 Depth=1
	s_and_not1_saveexec_b32 s93, s93
; %bb.4206:                             ;   in Loop: Header=BB1_2 Depth=1
	s_delay_alu instid0(VALU_DEP_1)
	v_add_nc_u32_e32 v9, 0x18000000, v9
; %bb.4207:                             ;   in Loop: Header=BB1_2 Depth=1
	s_or_b32 exec_lo, exec_lo, s93
.LBB1_4208:                             ;   in Loop: Header=BB1_2 Depth=1
	s_and_not1_saveexec_b32 s92, s92
; %bb.4209:                             ;   in Loop: Header=BB1_2 Depth=1
	s_delay_alu instid0(VALU_DEP_1)
	v_add_nc_u32_e32 v9, 0x1c000000, v9
; %bb.4210:                             ;   in Loop: Header=BB1_2 Depth=1
	s_or_b32 exec_lo, exec_lo, s92
.LBB1_4211:                             ;   in Loop: Header=BB1_2 Depth=1
	s_and_not1_saveexec_b32 s91, s91
; %bb.4212:                             ;   in Loop: Header=BB1_2 Depth=1
	s_delay_alu instid0(VALU_DEP_1)
	v_add_nc_u32_e32 v9, 0x20000000, v9
; %bb.4213:                             ;   in Loop: Header=BB1_2 Depth=1
	s_or_b32 exec_lo, exec_lo, s91
.LBB1_4214:                             ;   in Loop: Header=BB1_2 Depth=1
	s_and_not1_saveexec_b32 s90, s90
; %bb.4215:                             ;   in Loop: Header=BB1_2 Depth=1
	s_delay_alu instid0(VALU_DEP_1)
	v_add_nc_u32_e32 v9, 0x24000000, v9
; %bb.4216:                             ;   in Loop: Header=BB1_2 Depth=1
	s_or_b32 exec_lo, exec_lo, s90
.LBB1_4217:                             ;   in Loop: Header=BB1_2 Depth=1
	s_and_not1_saveexec_b32 s89, s89
; %bb.4218:                             ;   in Loop: Header=BB1_2 Depth=1
	s_delay_alu instid0(VALU_DEP_1)
	v_add_nc_u32_e32 v9, 0x28000000, v9
; %bb.4219:                             ;   in Loop: Header=BB1_2 Depth=1
	s_or_b32 exec_lo, exec_lo, s89
.LBB1_4220:                             ;   in Loop: Header=BB1_2 Depth=1
	s_and_not1_saveexec_b32 s88, s88
; %bb.4221:                             ;   in Loop: Header=BB1_2 Depth=1
	s_delay_alu instid0(VALU_DEP_1)
	v_add_nc_u32_e32 v9, 0x2c000000, v9
; %bb.4222:                             ;   in Loop: Header=BB1_2 Depth=1
	s_or_b32 exec_lo, exec_lo, s88
.LBB1_4223:                             ;   in Loop: Header=BB1_2 Depth=1
	s_and_not1_saveexec_b32 s87, s87
; %bb.4224:                             ;   in Loop: Header=BB1_2 Depth=1
	s_delay_alu instid0(VALU_DEP_1)
	v_add_nc_u32_e32 v9, 0x30000000, v9
; %bb.4225:                             ;   in Loop: Header=BB1_2 Depth=1
	s_or_b32 exec_lo, exec_lo, s87
.LBB1_4226:                             ;   in Loop: Header=BB1_2 Depth=1
	s_and_not1_saveexec_b32 s86, s86
; %bb.4227:                             ;   in Loop: Header=BB1_2 Depth=1
	s_delay_alu instid0(VALU_DEP_1)
	v_add_nc_u32_e32 v9, 0x34000000, v9
; %bb.4228:                             ;   in Loop: Header=BB1_2 Depth=1
	s_or_b32 exec_lo, exec_lo, s86
.LBB1_4229:                             ;   in Loop: Header=BB1_2 Depth=1
	s_and_not1_saveexec_b32 s85, s85
; %bb.4230:                             ;   in Loop: Header=BB1_2 Depth=1
	s_delay_alu instid0(VALU_DEP_1)
	v_add_nc_u32_e32 v9, 0x38000000, v9
; %bb.4231:                             ;   in Loop: Header=BB1_2 Depth=1
	s_or_b32 exec_lo, exec_lo, s85
.LBB1_4232:                             ;   in Loop: Header=BB1_2 Depth=1
	s_and_not1_saveexec_b32 s84, s84
; %bb.4233:                             ;   in Loop: Header=BB1_2 Depth=1
	s_delay_alu instid0(VALU_DEP_1)
	v_add_nc_u32_e32 v9, 0x3c000000, v9
; %bb.4234:                             ;   in Loop: Header=BB1_2 Depth=1
	s_or_b32 exec_lo, exec_lo, s84
.LBB1_4235:                             ;   in Loop: Header=BB1_2 Depth=1
	s_and_not1_saveexec_b32 s83, s83
; %bb.4236:                             ;   in Loop: Header=BB1_2 Depth=1
	s_delay_alu instid0(VALU_DEP_1)
	v_add_nc_u32_e32 v9, 2.0, v9
; %bb.4237:                             ;   in Loop: Header=BB1_2 Depth=1
	s_or_b32 exec_lo, exec_lo, s83
.LBB1_4238:                             ;   in Loop: Header=BB1_2 Depth=1
	s_and_not1_saveexec_b32 s82, s82
; %bb.4239:                             ;   in Loop: Header=BB1_2 Depth=1
	s_delay_alu instid0(VALU_DEP_1)
	v_add_nc_u32_e32 v9, 0x44000000, v9
; %bb.4240:                             ;   in Loop: Header=BB1_2 Depth=1
	s_or_b32 exec_lo, exec_lo, s82
.LBB1_4241:                             ;   in Loop: Header=BB1_2 Depth=1
	s_and_not1_saveexec_b32 s81, s81
; %bb.4242:                             ;   in Loop: Header=BB1_2 Depth=1
	s_delay_alu instid0(VALU_DEP_1)
	v_add_nc_u32_e32 v9, 0x48000000, v9
; %bb.4243:                             ;   in Loop: Header=BB1_2 Depth=1
	s_or_b32 exec_lo, exec_lo, s81
.LBB1_4244:                             ;   in Loop: Header=BB1_2 Depth=1
	s_and_not1_saveexec_b32 s80, s80
; %bb.4245:                             ;   in Loop: Header=BB1_2 Depth=1
	s_delay_alu instid0(VALU_DEP_1)
	v_add_nc_u32_e32 v9, 0x4c000000, v9
; %bb.4246:                             ;   in Loop: Header=BB1_2 Depth=1
	s_or_b32 exec_lo, exec_lo, s80
.LBB1_4247:                             ;   in Loop: Header=BB1_2 Depth=1
	s_and_not1_saveexec_b32 s79, s79
; %bb.4248:                             ;   in Loop: Header=BB1_2 Depth=1
	s_delay_alu instid0(VALU_DEP_1)
	v_add_nc_u32_e32 v9, 0x50000000, v9
; %bb.4249:                             ;   in Loop: Header=BB1_2 Depth=1
	s_or_b32 exec_lo, exec_lo, s79
.LBB1_4250:                             ;   in Loop: Header=BB1_2 Depth=1
	s_and_not1_saveexec_b32 s78, s78
; %bb.4251:                             ;   in Loop: Header=BB1_2 Depth=1
	s_delay_alu instid0(VALU_DEP_1)
	v_add_nc_u32_e32 v9, 0x54000000, v9
; %bb.4252:                             ;   in Loop: Header=BB1_2 Depth=1
	s_or_b32 exec_lo, exec_lo, s78
.LBB1_4253:                             ;   in Loop: Header=BB1_2 Depth=1
	s_and_not1_saveexec_b32 s77, s77
; %bb.4254:                             ;   in Loop: Header=BB1_2 Depth=1
	s_delay_alu instid0(VALU_DEP_1)
	v_add_nc_u32_e32 v9, 0x58000000, v9
; %bb.4255:                             ;   in Loop: Header=BB1_2 Depth=1
	s_or_b32 exec_lo, exec_lo, s77
.LBB1_4256:                             ;   in Loop: Header=BB1_2 Depth=1
	s_and_not1_saveexec_b32 s76, s76
; %bb.4257:                             ;   in Loop: Header=BB1_2 Depth=1
	s_delay_alu instid0(VALU_DEP_1)
	v_add_nc_u32_e32 v9, 0x5c000000, v9
; %bb.4258:                             ;   in Loop: Header=BB1_2 Depth=1
	s_or_b32 exec_lo, exec_lo, s76
.LBB1_4259:                             ;   in Loop: Header=BB1_2 Depth=1
	s_and_not1_saveexec_b32 s75, s75
; %bb.4260:                             ;   in Loop: Header=BB1_2 Depth=1
	s_delay_alu instid0(VALU_DEP_1)
	v_add_nc_u32_e32 v9, 0x60000000, v9
; %bb.4261:                             ;   in Loop: Header=BB1_2 Depth=1
	s_or_b32 exec_lo, exec_lo, s75
.LBB1_4262:                             ;   in Loop: Header=BB1_2 Depth=1
	s_and_not1_saveexec_b32 s74, s74
; %bb.4263:                             ;   in Loop: Header=BB1_2 Depth=1
	s_delay_alu instid0(VALU_DEP_1)
	v_add_nc_u32_e32 v9, 0x64000000, v9
; %bb.4264:                             ;   in Loop: Header=BB1_2 Depth=1
	s_or_b32 exec_lo, exec_lo, s74
.LBB1_4265:                             ;   in Loop: Header=BB1_2 Depth=1
	s_and_not1_saveexec_b32 s73, s73
; %bb.4266:                             ;   in Loop: Header=BB1_2 Depth=1
	s_delay_alu instid0(VALU_DEP_1)
	v_add_nc_u32_e32 v9, 0x68000000, v9
; %bb.4267:                             ;   in Loop: Header=BB1_2 Depth=1
	s_or_b32 exec_lo, exec_lo, s73
.LBB1_4268:                             ;   in Loop: Header=BB1_2 Depth=1
	s_and_not1_saveexec_b32 s72, s72
; %bb.4269:                             ;   in Loop: Header=BB1_2 Depth=1
	s_delay_alu instid0(VALU_DEP_1)
	v_add_nc_u32_e32 v9, 0x6c000000, v9
; %bb.4270:                             ;   in Loop: Header=BB1_2 Depth=1
	s_or_b32 exec_lo, exec_lo, s72
.LBB1_4271:                             ;   in Loop: Header=BB1_2 Depth=1
	s_and_not1_saveexec_b32 s35, s35
; %bb.4272:                             ;   in Loop: Header=BB1_2 Depth=1
	s_delay_alu instid0(VALU_DEP_1)
	v_add_nc_u32_e32 v9, 0x70000000, v9
; %bb.4273:                             ;   in Loop: Header=BB1_2 Depth=1
	s_or_b32 exec_lo, exec_lo, s35
.LBB1_4274:                             ;   in Loop: Header=BB1_2 Depth=1
	s_and_not1_saveexec_b32 s34, s34
; %bb.4275:                             ;   in Loop: Header=BB1_2 Depth=1
	s_delay_alu instid0(VALU_DEP_1)
	v_add_nc_u32_e32 v9, 0x74000000, v9
; %bb.4276:                             ;   in Loop: Header=BB1_2 Depth=1
	s_or_b32 exec_lo, exec_lo, s34
.LBB1_4277:                             ;   in Loop: Header=BB1_2 Depth=1
	s_and_not1_saveexec_b32 s33, s33
; %bb.4278:                             ;   in Loop: Header=BB1_2 Depth=1
	s_delay_alu instid0(VALU_DEP_1)
	v_add_nc_u32_e32 v9, 0x78000000, v9
; %bb.4279:                             ;   in Loop: Header=BB1_2 Depth=1
	s_or_b32 exec_lo, exec_lo, s33
.LBB1_4280:                             ;   in Loop: Header=BB1_2 Depth=1
	s_and_not1_saveexec_b32 s31, s31
; %bb.4281:                             ;   in Loop: Header=BB1_2 Depth=1
	s_delay_alu instid0(VALU_DEP_1)
	v_add_nc_u32_e32 v9, 0x7c000000, v9
; %bb.4282:                             ;   in Loop: Header=BB1_2 Depth=1
	s_or_b32 exec_lo, exec_lo, s31
	v_mov_b32_e32 v0, s1
	s_mov_b32 s31, exec_lo
	ds_load_2addr_b64 v[10:13], v0 offset0:120 offset1:121
	ds_load_b64 v[14:15], v0 offset:976
	s_wait_dscnt 0x1
	v_mul_f64_e32 v[0:1], v[4:5], v[12:13]
	s_delay_alu instid0(VALU_DEP_1)
	v_fmac_f64_e32 v[0:1], v[2:3], v[10:11]
	v_add3_u32 v11, v8, s30, 0x24000
	v_mov_b32_e32 v10, 0x7c
	global_store_b32 v11, v9, s[2:3] scale_offset
	s_wait_dscnt 0x0
	v_fmac_f64_e32 v[0:1], v[6:7], v[14:15]
	s_wait_xcnt 0x0
	s_delay_alu instid0(VALU_DEP_1)
	v_cmpx_ngt_f64_e32 s[28:29], v[0:1]
	s_cbranch_execz .LBB1_4344
; %bb.4283:                             ;   in Loop: Header=BB1_2 Depth=1
	v_mov_b32_e32 v10, 0x78
	s_mov_b32 s33, exec_lo
	v_cmpx_ngt_f64_e32 s[70:71], v[0:1]
	s_cbranch_execz .LBB1_4343
; %bb.4284:                             ;   in Loop: Header=BB1_2 Depth=1
	v_mov_b32_e32 v10, 0x74
	s_mov_b32 s34, exec_lo
	;; [unrolled: 5-line block ×30, first 2 shown]
	v_cmpx_gt_f64_e32 s[52:53], v[0:1]
; %bb.4313:                             ;   in Loop: Header=BB1_2 Depth=1
	v_mov_b32_e32 v10, 4
; %bb.4314:                             ;   in Loop: Header=BB1_2 Depth=1
	s_or_b32 exec_lo, exec_lo, s98
.LBB1_4315:                             ;   in Loop: Header=BB1_2 Depth=1
	s_delay_alu instid0(SALU_CYCLE_1)
	s_or_b32 exec_lo, exec_lo, s97
.LBB1_4316:                             ;   in Loop: Header=BB1_2 Depth=1
	s_delay_alu instid0(SALU_CYCLE_1)
	s_or_b32 exec_lo, exec_lo, s96
.LBB1_4317:                             ;   in Loop: Header=BB1_2 Depth=1
	s_delay_alu instid0(SALU_CYCLE_1)
	s_or_b32 exec_lo, exec_lo, s95
.LBB1_4318:                             ;   in Loop: Header=BB1_2 Depth=1
	s_delay_alu instid0(SALU_CYCLE_1)
	s_or_b32 exec_lo, exec_lo, s94
.LBB1_4319:                             ;   in Loop: Header=BB1_2 Depth=1
	s_delay_alu instid0(SALU_CYCLE_1)
	s_or_b32 exec_lo, exec_lo, s93
.LBB1_4320:                             ;   in Loop: Header=BB1_2 Depth=1
	s_delay_alu instid0(SALU_CYCLE_1)
	s_or_b32 exec_lo, exec_lo, s92
.LBB1_4321:                             ;   in Loop: Header=BB1_2 Depth=1
	s_delay_alu instid0(SALU_CYCLE_1)
	s_or_b32 exec_lo, exec_lo, s91
.LBB1_4322:                             ;   in Loop: Header=BB1_2 Depth=1
	s_delay_alu instid0(SALU_CYCLE_1)
	s_or_b32 exec_lo, exec_lo, s90
.LBB1_4323:                             ;   in Loop: Header=BB1_2 Depth=1
	s_delay_alu instid0(SALU_CYCLE_1)
	s_or_b32 exec_lo, exec_lo, s89
.LBB1_4324:                             ;   in Loop: Header=BB1_2 Depth=1
	s_delay_alu instid0(SALU_CYCLE_1)
	s_or_b32 exec_lo, exec_lo, s88
.LBB1_4325:                             ;   in Loop: Header=BB1_2 Depth=1
	s_delay_alu instid0(SALU_CYCLE_1)
	s_or_b32 exec_lo, exec_lo, s87
.LBB1_4326:                             ;   in Loop: Header=BB1_2 Depth=1
	s_delay_alu instid0(SALU_CYCLE_1)
	s_or_b32 exec_lo, exec_lo, s86
.LBB1_4327:                             ;   in Loop: Header=BB1_2 Depth=1
	s_delay_alu instid0(SALU_CYCLE_1)
	s_or_b32 exec_lo, exec_lo, s85
.LBB1_4328:                             ;   in Loop: Header=BB1_2 Depth=1
	s_delay_alu instid0(SALU_CYCLE_1)
	s_or_b32 exec_lo, exec_lo, s84
.LBB1_4329:                             ;   in Loop: Header=BB1_2 Depth=1
	s_delay_alu instid0(SALU_CYCLE_1)
	s_or_b32 exec_lo, exec_lo, s83
.LBB1_4330:                             ;   in Loop: Header=BB1_2 Depth=1
	s_delay_alu instid0(SALU_CYCLE_1)
	s_or_b32 exec_lo, exec_lo, s82
.LBB1_4331:                             ;   in Loop: Header=BB1_2 Depth=1
	s_delay_alu instid0(SALU_CYCLE_1)
	s_or_b32 exec_lo, exec_lo, s81
.LBB1_4332:                             ;   in Loop: Header=BB1_2 Depth=1
	s_delay_alu instid0(SALU_CYCLE_1)
	s_or_b32 exec_lo, exec_lo, s80
.LBB1_4333:                             ;   in Loop: Header=BB1_2 Depth=1
	s_delay_alu instid0(SALU_CYCLE_1)
	s_or_b32 exec_lo, exec_lo, s79
.LBB1_4334:                             ;   in Loop: Header=BB1_2 Depth=1
	s_delay_alu instid0(SALU_CYCLE_1)
	s_or_b32 exec_lo, exec_lo, s78
.LBB1_4335:                             ;   in Loop: Header=BB1_2 Depth=1
	s_delay_alu instid0(SALU_CYCLE_1)
	s_or_b32 exec_lo, exec_lo, s77
.LBB1_4336:                             ;   in Loop: Header=BB1_2 Depth=1
	s_delay_alu instid0(SALU_CYCLE_1)
	s_or_b32 exec_lo, exec_lo, s76
.LBB1_4337:                             ;   in Loop: Header=BB1_2 Depth=1
	s_delay_alu instid0(SALU_CYCLE_1)
	s_or_b32 exec_lo, exec_lo, s75
.LBB1_4338:                             ;   in Loop: Header=BB1_2 Depth=1
	s_delay_alu instid0(SALU_CYCLE_1)
	s_or_b32 exec_lo, exec_lo, s74
.LBB1_4339:                             ;   in Loop: Header=BB1_2 Depth=1
	s_delay_alu instid0(SALU_CYCLE_1)
	s_or_b32 exec_lo, exec_lo, s73
.LBB1_4340:                             ;   in Loop: Header=BB1_2 Depth=1
	s_delay_alu instid0(SALU_CYCLE_1)
	s_or_b32 exec_lo, exec_lo, s72
.LBB1_4341:                             ;   in Loop: Header=BB1_2 Depth=1
	s_delay_alu instid0(SALU_CYCLE_1)
	s_or_b32 exec_lo, exec_lo, s35
.LBB1_4342:                             ;   in Loop: Header=BB1_2 Depth=1
	s_delay_alu instid0(SALU_CYCLE_1)
	s_or_b32 exec_lo, exec_lo, s34
.LBB1_4343:                             ;   in Loop: Header=BB1_2 Depth=1
	s_delay_alu instid0(SALU_CYCLE_1)
	s_or_b32 exec_lo, exec_lo, s33
.LBB1_4344:                             ;   in Loop: Header=BB1_2 Depth=1
	s_delay_alu instid0(SALU_CYCLE_1)
	s_or_b32 exec_lo, exec_lo, s31
	v_mov_b32_e32 v0, s1
	s_mov_b32 s31, exec_lo
	ds_load_2addr_b64 v[12:15], v0 offset0:123 offset1:124
	ds_load_b64 v[16:17], v0 offset:1000
	s_wait_dscnt 0x1
	v_mul_f64_e32 v[0:1], v[4:5], v[14:15]
	s_delay_alu instid0(VALU_DEP_1) | instskip(SKIP_1) | instid1(VALU_DEP_1)
	v_fmac_f64_e32 v[0:1], v[2:3], v[12:13]
	s_wait_dscnt 0x0
	v_fmac_f64_e32 v[0:1], v[6:7], v[16:17]
	s_delay_alu instid0(VALU_DEP_1)
	v_cmpx_ngt_f64_e32 s[28:29], v[0:1]
	s_xor_b32 s31, exec_lo, s31
	s_cbranch_execz .LBB1_4464
; %bb.4345:                             ;   in Loop: Header=BB1_2 Depth=1
	s_mov_b32 s33, exec_lo
	v_cmpx_ngt_f64_e32 s[70:71], v[0:1]
	s_xor_b32 s33, exec_lo, s33
	s_cbranch_execz .LBB1_4461
; %bb.4346:                             ;   in Loop: Header=BB1_2 Depth=1
	s_mov_b32 s34, exec_lo
	;; [unrolled: 5-line block ×30, first 2 shown]
	v_cmpx_gt_f64_e32 s[52:53], v[0:1]
; %bb.4375:                             ;   in Loop: Header=BB1_2 Depth=1
	v_or_b32_e32 v10, 0x400, v10
; %bb.4376:                             ;   in Loop: Header=BB1_2 Depth=1
	s_or_b32 exec_lo, exec_lo, s98
.LBB1_4377:                             ;   in Loop: Header=BB1_2 Depth=1
	s_and_not1_saveexec_b32 s97, s97
; %bb.4378:                             ;   in Loop: Header=BB1_2 Depth=1
	s_delay_alu instid0(VALU_DEP_1)
	v_or_b32_e32 v10, 0x800, v10
; %bb.4379:                             ;   in Loop: Header=BB1_2 Depth=1
	s_or_b32 exec_lo, exec_lo, s97
.LBB1_4380:                             ;   in Loop: Header=BB1_2 Depth=1
	s_and_not1_saveexec_b32 s96, s96
; %bb.4381:                             ;   in Loop: Header=BB1_2 Depth=1
	s_delay_alu instid0(VALU_DEP_1)
	v_or_b32_e32 v10, 0xc00, v10
; %bb.4382:                             ;   in Loop: Header=BB1_2 Depth=1
	s_or_b32 exec_lo, exec_lo, s96
.LBB1_4383:                             ;   in Loop: Header=BB1_2 Depth=1
	s_and_not1_saveexec_b32 s95, s95
; %bb.4384:                             ;   in Loop: Header=BB1_2 Depth=1
	s_delay_alu instid0(VALU_DEP_1)
	v_or_b32_e32 v10, 0x1000, v10
; %bb.4385:                             ;   in Loop: Header=BB1_2 Depth=1
	s_or_b32 exec_lo, exec_lo, s95
.LBB1_4386:                             ;   in Loop: Header=BB1_2 Depth=1
	s_and_not1_saveexec_b32 s94, s94
; %bb.4387:                             ;   in Loop: Header=BB1_2 Depth=1
	s_delay_alu instid0(VALU_DEP_1)
	v_or_b32_e32 v10, 0x1400, v10
; %bb.4388:                             ;   in Loop: Header=BB1_2 Depth=1
	s_or_b32 exec_lo, exec_lo, s94
.LBB1_4389:                             ;   in Loop: Header=BB1_2 Depth=1
	s_and_not1_saveexec_b32 s93, s93
; %bb.4390:                             ;   in Loop: Header=BB1_2 Depth=1
	s_delay_alu instid0(VALU_DEP_1)
	v_or_b32_e32 v10, 0x1800, v10
; %bb.4391:                             ;   in Loop: Header=BB1_2 Depth=1
	s_or_b32 exec_lo, exec_lo, s93
.LBB1_4392:                             ;   in Loop: Header=BB1_2 Depth=1
	s_and_not1_saveexec_b32 s92, s92
; %bb.4393:                             ;   in Loop: Header=BB1_2 Depth=1
	s_delay_alu instid0(VALU_DEP_1)
	v_or_b32_e32 v10, 0x1c00, v10
; %bb.4394:                             ;   in Loop: Header=BB1_2 Depth=1
	s_or_b32 exec_lo, exec_lo, s92
.LBB1_4395:                             ;   in Loop: Header=BB1_2 Depth=1
	s_and_not1_saveexec_b32 s91, s91
; %bb.4396:                             ;   in Loop: Header=BB1_2 Depth=1
	s_delay_alu instid0(VALU_DEP_1)
	v_or_b32_e32 v10, 0x2000, v10
; %bb.4397:                             ;   in Loop: Header=BB1_2 Depth=1
	s_or_b32 exec_lo, exec_lo, s91
.LBB1_4398:                             ;   in Loop: Header=BB1_2 Depth=1
	s_and_not1_saveexec_b32 s90, s90
; %bb.4399:                             ;   in Loop: Header=BB1_2 Depth=1
	s_delay_alu instid0(VALU_DEP_1)
	v_or_b32_e32 v10, 0x2400, v10
; %bb.4400:                             ;   in Loop: Header=BB1_2 Depth=1
	s_or_b32 exec_lo, exec_lo, s90
.LBB1_4401:                             ;   in Loop: Header=BB1_2 Depth=1
	s_and_not1_saveexec_b32 s89, s89
; %bb.4402:                             ;   in Loop: Header=BB1_2 Depth=1
	s_delay_alu instid0(VALU_DEP_1)
	v_or_b32_e32 v10, 0x2800, v10
; %bb.4403:                             ;   in Loop: Header=BB1_2 Depth=1
	s_or_b32 exec_lo, exec_lo, s89
.LBB1_4404:                             ;   in Loop: Header=BB1_2 Depth=1
	s_and_not1_saveexec_b32 s88, s88
; %bb.4405:                             ;   in Loop: Header=BB1_2 Depth=1
	s_delay_alu instid0(VALU_DEP_1)
	v_or_b32_e32 v10, 0x2c00, v10
; %bb.4406:                             ;   in Loop: Header=BB1_2 Depth=1
	s_or_b32 exec_lo, exec_lo, s88
.LBB1_4407:                             ;   in Loop: Header=BB1_2 Depth=1
	s_and_not1_saveexec_b32 s87, s87
; %bb.4408:                             ;   in Loop: Header=BB1_2 Depth=1
	s_delay_alu instid0(VALU_DEP_1)
	v_or_b32_e32 v10, 0x3000, v10
; %bb.4409:                             ;   in Loop: Header=BB1_2 Depth=1
	s_or_b32 exec_lo, exec_lo, s87
.LBB1_4410:                             ;   in Loop: Header=BB1_2 Depth=1
	s_and_not1_saveexec_b32 s86, s86
; %bb.4411:                             ;   in Loop: Header=BB1_2 Depth=1
	s_delay_alu instid0(VALU_DEP_1)
	v_or_b32_e32 v10, 0x3400, v10
; %bb.4412:                             ;   in Loop: Header=BB1_2 Depth=1
	s_or_b32 exec_lo, exec_lo, s86
.LBB1_4413:                             ;   in Loop: Header=BB1_2 Depth=1
	s_and_not1_saveexec_b32 s85, s85
; %bb.4414:                             ;   in Loop: Header=BB1_2 Depth=1
	s_delay_alu instid0(VALU_DEP_1)
	v_or_b32_e32 v10, 0x3800, v10
; %bb.4415:                             ;   in Loop: Header=BB1_2 Depth=1
	s_or_b32 exec_lo, exec_lo, s85
.LBB1_4416:                             ;   in Loop: Header=BB1_2 Depth=1
	s_and_not1_saveexec_b32 s84, s84
; %bb.4417:                             ;   in Loop: Header=BB1_2 Depth=1
	s_delay_alu instid0(VALU_DEP_1)
	v_or_b32_e32 v10, 0x3c00, v10
; %bb.4418:                             ;   in Loop: Header=BB1_2 Depth=1
	s_or_b32 exec_lo, exec_lo, s84
.LBB1_4419:                             ;   in Loop: Header=BB1_2 Depth=1
	s_and_not1_saveexec_b32 s83, s83
; %bb.4420:                             ;   in Loop: Header=BB1_2 Depth=1
	s_delay_alu instid0(VALU_DEP_1)
	v_or_b32_e32 v10, 0x4000, v10
; %bb.4421:                             ;   in Loop: Header=BB1_2 Depth=1
	s_or_b32 exec_lo, exec_lo, s83
.LBB1_4422:                             ;   in Loop: Header=BB1_2 Depth=1
	s_and_not1_saveexec_b32 s82, s82
; %bb.4423:                             ;   in Loop: Header=BB1_2 Depth=1
	s_delay_alu instid0(VALU_DEP_1)
	v_or_b32_e32 v10, 0x4400, v10
; %bb.4424:                             ;   in Loop: Header=BB1_2 Depth=1
	s_or_b32 exec_lo, exec_lo, s82
.LBB1_4425:                             ;   in Loop: Header=BB1_2 Depth=1
	s_and_not1_saveexec_b32 s81, s81
; %bb.4426:                             ;   in Loop: Header=BB1_2 Depth=1
	s_delay_alu instid0(VALU_DEP_1)
	v_or_b32_e32 v10, 0x4800, v10
; %bb.4427:                             ;   in Loop: Header=BB1_2 Depth=1
	s_or_b32 exec_lo, exec_lo, s81
.LBB1_4428:                             ;   in Loop: Header=BB1_2 Depth=1
	s_and_not1_saveexec_b32 s80, s80
; %bb.4429:                             ;   in Loop: Header=BB1_2 Depth=1
	s_delay_alu instid0(VALU_DEP_1)
	v_or_b32_e32 v10, 0x4c00, v10
; %bb.4430:                             ;   in Loop: Header=BB1_2 Depth=1
	s_or_b32 exec_lo, exec_lo, s80
.LBB1_4431:                             ;   in Loop: Header=BB1_2 Depth=1
	s_and_not1_saveexec_b32 s79, s79
; %bb.4432:                             ;   in Loop: Header=BB1_2 Depth=1
	s_delay_alu instid0(VALU_DEP_1)
	v_or_b32_e32 v10, 0x5000, v10
; %bb.4433:                             ;   in Loop: Header=BB1_2 Depth=1
	s_or_b32 exec_lo, exec_lo, s79
.LBB1_4434:                             ;   in Loop: Header=BB1_2 Depth=1
	s_and_not1_saveexec_b32 s78, s78
; %bb.4435:                             ;   in Loop: Header=BB1_2 Depth=1
	s_delay_alu instid0(VALU_DEP_1)
	v_or_b32_e32 v10, 0x5400, v10
; %bb.4436:                             ;   in Loop: Header=BB1_2 Depth=1
	s_or_b32 exec_lo, exec_lo, s78
.LBB1_4437:                             ;   in Loop: Header=BB1_2 Depth=1
	s_and_not1_saveexec_b32 s77, s77
; %bb.4438:                             ;   in Loop: Header=BB1_2 Depth=1
	s_delay_alu instid0(VALU_DEP_1)
	v_or_b32_e32 v10, 0x5800, v10
; %bb.4439:                             ;   in Loop: Header=BB1_2 Depth=1
	s_or_b32 exec_lo, exec_lo, s77
.LBB1_4440:                             ;   in Loop: Header=BB1_2 Depth=1
	s_and_not1_saveexec_b32 s76, s76
; %bb.4441:                             ;   in Loop: Header=BB1_2 Depth=1
	s_delay_alu instid0(VALU_DEP_1)
	v_or_b32_e32 v10, 0x5c00, v10
; %bb.4442:                             ;   in Loop: Header=BB1_2 Depth=1
	s_or_b32 exec_lo, exec_lo, s76
.LBB1_4443:                             ;   in Loop: Header=BB1_2 Depth=1
	s_and_not1_saveexec_b32 s75, s75
; %bb.4444:                             ;   in Loop: Header=BB1_2 Depth=1
	s_delay_alu instid0(VALU_DEP_1)
	v_or_b32_e32 v10, 0x6000, v10
; %bb.4445:                             ;   in Loop: Header=BB1_2 Depth=1
	s_or_b32 exec_lo, exec_lo, s75
.LBB1_4446:                             ;   in Loop: Header=BB1_2 Depth=1
	s_and_not1_saveexec_b32 s74, s74
; %bb.4447:                             ;   in Loop: Header=BB1_2 Depth=1
	s_delay_alu instid0(VALU_DEP_1)
	v_or_b32_e32 v10, 0x6400, v10
; %bb.4448:                             ;   in Loop: Header=BB1_2 Depth=1
	s_or_b32 exec_lo, exec_lo, s74
.LBB1_4449:                             ;   in Loop: Header=BB1_2 Depth=1
	s_and_not1_saveexec_b32 s73, s73
; %bb.4450:                             ;   in Loop: Header=BB1_2 Depth=1
	s_delay_alu instid0(VALU_DEP_1)
	v_or_b32_e32 v10, 0x6800, v10
; %bb.4451:                             ;   in Loop: Header=BB1_2 Depth=1
	s_or_b32 exec_lo, exec_lo, s73
.LBB1_4452:                             ;   in Loop: Header=BB1_2 Depth=1
	s_and_not1_saveexec_b32 s72, s72
; %bb.4453:                             ;   in Loop: Header=BB1_2 Depth=1
	s_delay_alu instid0(VALU_DEP_1)
	v_or_b32_e32 v10, 0x6c00, v10
; %bb.4454:                             ;   in Loop: Header=BB1_2 Depth=1
	s_or_b32 exec_lo, exec_lo, s72
.LBB1_4455:                             ;   in Loop: Header=BB1_2 Depth=1
	s_and_not1_saveexec_b32 s35, s35
; %bb.4456:                             ;   in Loop: Header=BB1_2 Depth=1
	s_delay_alu instid0(VALU_DEP_1)
	v_or_b32_e32 v10, 0x7000, v10
; %bb.4457:                             ;   in Loop: Header=BB1_2 Depth=1
	s_or_b32 exec_lo, exec_lo, s35
.LBB1_4458:                             ;   in Loop: Header=BB1_2 Depth=1
	s_and_not1_saveexec_b32 s34, s34
; %bb.4459:                             ;   in Loop: Header=BB1_2 Depth=1
	s_delay_alu instid0(VALU_DEP_1)
	v_or_b32_e32 v10, 0x7400, v10
; %bb.4460:                             ;   in Loop: Header=BB1_2 Depth=1
	s_or_b32 exec_lo, exec_lo, s34
.LBB1_4461:                             ;   in Loop: Header=BB1_2 Depth=1
	s_and_not1_saveexec_b32 s33, s33
; %bb.4462:                             ;   in Loop: Header=BB1_2 Depth=1
	s_delay_alu instid0(VALU_DEP_1)
	v_or_b32_e32 v10, 0x7800, v10
; %bb.4463:                             ;   in Loop: Header=BB1_2 Depth=1
	s_or_b32 exec_lo, exec_lo, s33
.LBB1_4464:                             ;   in Loop: Header=BB1_2 Depth=1
	s_and_not1_saveexec_b32 s31, s31
; %bb.4465:                             ;   in Loop: Header=BB1_2 Depth=1
	s_delay_alu instid0(VALU_DEP_1)
	v_or_b32_e32 v10, 0x7c00, v10
; %bb.4466:                             ;   in Loop: Header=BB1_2 Depth=1
	s_or_b32 exec_lo, exec_lo, s31
	v_mov_b32_e32 v0, s1
	s_mov_b32 s31, exec_lo
	ds_load_2addr_b64 v[12:15], v0 offset0:126 offset1:127
	ds_load_b64 v[16:17], v0 offset:1024
	s_wait_dscnt 0x1
	v_mul_f64_e32 v[0:1], v[4:5], v[14:15]
	s_delay_alu instid0(VALU_DEP_1) | instskip(SKIP_1) | instid1(VALU_DEP_1)
	v_fmac_f64_e32 v[0:1], v[2:3], v[12:13]
	s_wait_dscnt 0x0
	v_fmac_f64_e32 v[0:1], v[6:7], v[16:17]
	s_delay_alu instid0(VALU_DEP_1)
	v_cmpx_ngt_f64_e32 s[28:29], v[0:1]
	s_xor_b32 s31, exec_lo, s31
	s_cbranch_execz .LBB1_4586
; %bb.4467:                             ;   in Loop: Header=BB1_2 Depth=1
	s_mov_b32 s33, exec_lo
	v_cmpx_ngt_f64_e32 s[70:71], v[0:1]
	s_xor_b32 s33, exec_lo, s33
	s_cbranch_execz .LBB1_4583
; %bb.4468:                             ;   in Loop: Header=BB1_2 Depth=1
	s_mov_b32 s34, exec_lo
	;; [unrolled: 5-line block ×30, first 2 shown]
	v_cmpx_gt_f64_e32 s[52:53], v[0:1]
; %bb.4497:                             ;   in Loop: Header=BB1_2 Depth=1
	v_add_nc_u32_e32 v10, 0x40000, v10
; %bb.4498:                             ;   in Loop: Header=BB1_2 Depth=1
	s_or_b32 exec_lo, exec_lo, s98
.LBB1_4499:                             ;   in Loop: Header=BB1_2 Depth=1
	s_and_not1_saveexec_b32 s97, s97
; %bb.4500:                             ;   in Loop: Header=BB1_2 Depth=1
	s_delay_alu instid0(VALU_DEP_1)
	v_add_nc_u32_e32 v10, 0x80000, v10
; %bb.4501:                             ;   in Loop: Header=BB1_2 Depth=1
	s_or_b32 exec_lo, exec_lo, s97
.LBB1_4502:                             ;   in Loop: Header=BB1_2 Depth=1
	s_and_not1_saveexec_b32 s96, s96
; %bb.4503:                             ;   in Loop: Header=BB1_2 Depth=1
	s_delay_alu instid0(VALU_DEP_1)
	v_add_nc_u32_e32 v10, 0xc0000, v10
; %bb.4504:                             ;   in Loop: Header=BB1_2 Depth=1
	s_or_b32 exec_lo, exec_lo, s96
.LBB1_4505:                             ;   in Loop: Header=BB1_2 Depth=1
	s_and_not1_saveexec_b32 s95, s95
; %bb.4506:                             ;   in Loop: Header=BB1_2 Depth=1
	s_delay_alu instid0(VALU_DEP_1)
	v_add_nc_u32_e32 v10, 0x100000, v10
; %bb.4507:                             ;   in Loop: Header=BB1_2 Depth=1
	s_or_b32 exec_lo, exec_lo, s95
.LBB1_4508:                             ;   in Loop: Header=BB1_2 Depth=1
	s_and_not1_saveexec_b32 s94, s94
; %bb.4509:                             ;   in Loop: Header=BB1_2 Depth=1
	s_delay_alu instid0(VALU_DEP_1)
	v_add_nc_u32_e32 v10, 0x140000, v10
; %bb.4510:                             ;   in Loop: Header=BB1_2 Depth=1
	s_or_b32 exec_lo, exec_lo, s94
.LBB1_4511:                             ;   in Loop: Header=BB1_2 Depth=1
	s_and_not1_saveexec_b32 s93, s93
; %bb.4512:                             ;   in Loop: Header=BB1_2 Depth=1
	s_delay_alu instid0(VALU_DEP_1)
	v_add_nc_u32_e32 v10, 0x180000, v10
; %bb.4513:                             ;   in Loop: Header=BB1_2 Depth=1
	s_or_b32 exec_lo, exec_lo, s93
.LBB1_4514:                             ;   in Loop: Header=BB1_2 Depth=1
	s_and_not1_saveexec_b32 s92, s92
; %bb.4515:                             ;   in Loop: Header=BB1_2 Depth=1
	s_delay_alu instid0(VALU_DEP_1)
	v_add_nc_u32_e32 v10, 0x1c0000, v10
; %bb.4516:                             ;   in Loop: Header=BB1_2 Depth=1
	s_or_b32 exec_lo, exec_lo, s92
.LBB1_4517:                             ;   in Loop: Header=BB1_2 Depth=1
	s_and_not1_saveexec_b32 s91, s91
; %bb.4518:                             ;   in Loop: Header=BB1_2 Depth=1
	s_delay_alu instid0(VALU_DEP_1)
	v_add_nc_u32_e32 v10, 0x200000, v10
; %bb.4519:                             ;   in Loop: Header=BB1_2 Depth=1
	s_or_b32 exec_lo, exec_lo, s91
.LBB1_4520:                             ;   in Loop: Header=BB1_2 Depth=1
	s_and_not1_saveexec_b32 s90, s90
; %bb.4521:                             ;   in Loop: Header=BB1_2 Depth=1
	s_delay_alu instid0(VALU_DEP_1)
	v_add_nc_u32_e32 v10, 0x240000, v10
; %bb.4522:                             ;   in Loop: Header=BB1_2 Depth=1
	s_or_b32 exec_lo, exec_lo, s90
.LBB1_4523:                             ;   in Loop: Header=BB1_2 Depth=1
	s_and_not1_saveexec_b32 s89, s89
; %bb.4524:                             ;   in Loop: Header=BB1_2 Depth=1
	s_delay_alu instid0(VALU_DEP_1)
	v_add_nc_u32_e32 v10, 0x280000, v10
; %bb.4525:                             ;   in Loop: Header=BB1_2 Depth=1
	s_or_b32 exec_lo, exec_lo, s89
.LBB1_4526:                             ;   in Loop: Header=BB1_2 Depth=1
	s_and_not1_saveexec_b32 s88, s88
; %bb.4527:                             ;   in Loop: Header=BB1_2 Depth=1
	s_delay_alu instid0(VALU_DEP_1)
	v_add_nc_u32_e32 v10, 0x2c0000, v10
; %bb.4528:                             ;   in Loop: Header=BB1_2 Depth=1
	s_or_b32 exec_lo, exec_lo, s88
.LBB1_4529:                             ;   in Loop: Header=BB1_2 Depth=1
	s_and_not1_saveexec_b32 s87, s87
; %bb.4530:                             ;   in Loop: Header=BB1_2 Depth=1
	s_delay_alu instid0(VALU_DEP_1)
	v_add_nc_u32_e32 v10, 0x300000, v10
; %bb.4531:                             ;   in Loop: Header=BB1_2 Depth=1
	s_or_b32 exec_lo, exec_lo, s87
.LBB1_4532:                             ;   in Loop: Header=BB1_2 Depth=1
	s_and_not1_saveexec_b32 s86, s86
; %bb.4533:                             ;   in Loop: Header=BB1_2 Depth=1
	s_delay_alu instid0(VALU_DEP_1)
	v_add_nc_u32_e32 v10, 0x340000, v10
; %bb.4534:                             ;   in Loop: Header=BB1_2 Depth=1
	s_or_b32 exec_lo, exec_lo, s86
.LBB1_4535:                             ;   in Loop: Header=BB1_2 Depth=1
	s_and_not1_saveexec_b32 s85, s85
; %bb.4536:                             ;   in Loop: Header=BB1_2 Depth=1
	s_delay_alu instid0(VALU_DEP_1)
	v_add_nc_u32_e32 v10, 0x380000, v10
; %bb.4537:                             ;   in Loop: Header=BB1_2 Depth=1
	s_or_b32 exec_lo, exec_lo, s85
.LBB1_4538:                             ;   in Loop: Header=BB1_2 Depth=1
	s_and_not1_saveexec_b32 s84, s84
; %bb.4539:                             ;   in Loop: Header=BB1_2 Depth=1
	s_delay_alu instid0(VALU_DEP_1)
	v_add_nc_u32_e32 v10, 0x3c0000, v10
; %bb.4540:                             ;   in Loop: Header=BB1_2 Depth=1
	s_or_b32 exec_lo, exec_lo, s84
.LBB1_4541:                             ;   in Loop: Header=BB1_2 Depth=1
	s_and_not1_saveexec_b32 s83, s83
; %bb.4542:                             ;   in Loop: Header=BB1_2 Depth=1
	s_delay_alu instid0(VALU_DEP_1)
	v_add_nc_u32_e32 v10, 0x400000, v10
; %bb.4543:                             ;   in Loop: Header=BB1_2 Depth=1
	s_or_b32 exec_lo, exec_lo, s83
.LBB1_4544:                             ;   in Loop: Header=BB1_2 Depth=1
	s_and_not1_saveexec_b32 s82, s82
; %bb.4545:                             ;   in Loop: Header=BB1_2 Depth=1
	s_delay_alu instid0(VALU_DEP_1)
	v_add_nc_u32_e32 v10, 0x440000, v10
; %bb.4546:                             ;   in Loop: Header=BB1_2 Depth=1
	s_or_b32 exec_lo, exec_lo, s82
.LBB1_4547:                             ;   in Loop: Header=BB1_2 Depth=1
	s_and_not1_saveexec_b32 s81, s81
; %bb.4548:                             ;   in Loop: Header=BB1_2 Depth=1
	s_delay_alu instid0(VALU_DEP_1)
	v_add_nc_u32_e32 v10, 0x480000, v10
; %bb.4549:                             ;   in Loop: Header=BB1_2 Depth=1
	s_or_b32 exec_lo, exec_lo, s81
.LBB1_4550:                             ;   in Loop: Header=BB1_2 Depth=1
	s_and_not1_saveexec_b32 s80, s80
; %bb.4551:                             ;   in Loop: Header=BB1_2 Depth=1
	s_delay_alu instid0(VALU_DEP_1)
	v_add_nc_u32_e32 v10, 0x4c0000, v10
; %bb.4552:                             ;   in Loop: Header=BB1_2 Depth=1
	s_or_b32 exec_lo, exec_lo, s80
.LBB1_4553:                             ;   in Loop: Header=BB1_2 Depth=1
	s_and_not1_saveexec_b32 s79, s79
; %bb.4554:                             ;   in Loop: Header=BB1_2 Depth=1
	s_delay_alu instid0(VALU_DEP_1)
	v_add_nc_u32_e32 v10, 0x500000, v10
; %bb.4555:                             ;   in Loop: Header=BB1_2 Depth=1
	s_or_b32 exec_lo, exec_lo, s79
.LBB1_4556:                             ;   in Loop: Header=BB1_2 Depth=1
	s_and_not1_saveexec_b32 s78, s78
; %bb.4557:                             ;   in Loop: Header=BB1_2 Depth=1
	s_delay_alu instid0(VALU_DEP_1)
	v_add_nc_u32_e32 v10, 0x540000, v10
; %bb.4558:                             ;   in Loop: Header=BB1_2 Depth=1
	s_or_b32 exec_lo, exec_lo, s78
.LBB1_4559:                             ;   in Loop: Header=BB1_2 Depth=1
	s_and_not1_saveexec_b32 s77, s77
; %bb.4560:                             ;   in Loop: Header=BB1_2 Depth=1
	s_delay_alu instid0(VALU_DEP_1)
	v_add_nc_u32_e32 v10, 0x580000, v10
; %bb.4561:                             ;   in Loop: Header=BB1_2 Depth=1
	s_or_b32 exec_lo, exec_lo, s77
.LBB1_4562:                             ;   in Loop: Header=BB1_2 Depth=1
	s_and_not1_saveexec_b32 s76, s76
; %bb.4563:                             ;   in Loop: Header=BB1_2 Depth=1
	s_delay_alu instid0(VALU_DEP_1)
	v_add_nc_u32_e32 v10, 0x5c0000, v10
; %bb.4564:                             ;   in Loop: Header=BB1_2 Depth=1
	s_or_b32 exec_lo, exec_lo, s76
.LBB1_4565:                             ;   in Loop: Header=BB1_2 Depth=1
	s_and_not1_saveexec_b32 s75, s75
; %bb.4566:                             ;   in Loop: Header=BB1_2 Depth=1
	s_delay_alu instid0(VALU_DEP_1)
	v_add_nc_u32_e32 v10, 0x600000, v10
; %bb.4567:                             ;   in Loop: Header=BB1_2 Depth=1
	s_or_b32 exec_lo, exec_lo, s75
.LBB1_4568:                             ;   in Loop: Header=BB1_2 Depth=1
	s_and_not1_saveexec_b32 s74, s74
; %bb.4569:                             ;   in Loop: Header=BB1_2 Depth=1
	s_delay_alu instid0(VALU_DEP_1)
	v_add_nc_u32_e32 v10, 0x640000, v10
; %bb.4570:                             ;   in Loop: Header=BB1_2 Depth=1
	s_or_b32 exec_lo, exec_lo, s74
.LBB1_4571:                             ;   in Loop: Header=BB1_2 Depth=1
	s_and_not1_saveexec_b32 s73, s73
; %bb.4572:                             ;   in Loop: Header=BB1_2 Depth=1
	s_delay_alu instid0(VALU_DEP_1)
	v_add_nc_u32_e32 v10, 0x680000, v10
; %bb.4573:                             ;   in Loop: Header=BB1_2 Depth=1
	s_or_b32 exec_lo, exec_lo, s73
.LBB1_4574:                             ;   in Loop: Header=BB1_2 Depth=1
	s_and_not1_saveexec_b32 s72, s72
; %bb.4575:                             ;   in Loop: Header=BB1_2 Depth=1
	s_delay_alu instid0(VALU_DEP_1)
	v_add_nc_u32_e32 v10, 0x6c0000, v10
; %bb.4576:                             ;   in Loop: Header=BB1_2 Depth=1
	s_or_b32 exec_lo, exec_lo, s72
.LBB1_4577:                             ;   in Loop: Header=BB1_2 Depth=1
	s_and_not1_saveexec_b32 s35, s35
; %bb.4578:                             ;   in Loop: Header=BB1_2 Depth=1
	s_delay_alu instid0(VALU_DEP_1)
	v_add_nc_u32_e32 v10, 0x700000, v10
; %bb.4579:                             ;   in Loop: Header=BB1_2 Depth=1
	s_or_b32 exec_lo, exec_lo, s35
.LBB1_4580:                             ;   in Loop: Header=BB1_2 Depth=1
	s_and_not1_saveexec_b32 s34, s34
; %bb.4581:                             ;   in Loop: Header=BB1_2 Depth=1
	s_delay_alu instid0(VALU_DEP_1)
	v_add_nc_u32_e32 v10, 0x740000, v10
; %bb.4582:                             ;   in Loop: Header=BB1_2 Depth=1
	s_or_b32 exec_lo, exec_lo, s34
.LBB1_4583:                             ;   in Loop: Header=BB1_2 Depth=1
	s_and_not1_saveexec_b32 s33, s33
; %bb.4584:                             ;   in Loop: Header=BB1_2 Depth=1
	s_delay_alu instid0(VALU_DEP_1)
	v_add_nc_u32_e32 v10, 0x780000, v10
; %bb.4585:                             ;   in Loop: Header=BB1_2 Depth=1
	s_or_b32 exec_lo, exec_lo, s33
.LBB1_4586:                             ;   in Loop: Header=BB1_2 Depth=1
	s_and_not1_saveexec_b32 s31, s31
; %bb.4587:                             ;   in Loop: Header=BB1_2 Depth=1
	s_delay_alu instid0(VALU_DEP_1)
	v_add_nc_u32_e32 v10, 0x7c0000, v10
; %bb.4588:                             ;   in Loop: Header=BB1_2 Depth=1
	s_or_b32 exec_lo, exec_lo, s31
	v_mov_b32_e32 v0, s1
	s_mov_b32 s31, exec_lo
	ds_load_2addr_b64 v[12:15], v0 offset0:129 offset1:130
	ds_load_b64 v[16:17], v0 offset:1048
	s_wait_dscnt 0x1
	v_mul_f64_e32 v[0:1], v[4:5], v[14:15]
	s_delay_alu instid0(VALU_DEP_1) | instskip(SKIP_1) | instid1(VALU_DEP_1)
	v_fmac_f64_e32 v[0:1], v[2:3], v[12:13]
	s_wait_dscnt 0x0
	v_fmac_f64_e32 v[0:1], v[6:7], v[16:17]
	s_delay_alu instid0(VALU_DEP_1)
	v_cmpx_ngt_f64_e32 s[28:29], v[0:1]
	s_xor_b32 s31, exec_lo, s31
	s_cbranch_execz .LBB1_4708
; %bb.4589:                             ;   in Loop: Header=BB1_2 Depth=1
	s_mov_b32 s33, exec_lo
	v_cmpx_ngt_f64_e32 s[70:71], v[0:1]
	s_xor_b32 s33, exec_lo, s33
	s_cbranch_execz .LBB1_4705
; %bb.4590:                             ;   in Loop: Header=BB1_2 Depth=1
	s_mov_b32 s34, exec_lo
	;; [unrolled: 5-line block ×30, first 2 shown]
	v_cmpx_gt_f64_e32 s[52:53], v[0:1]
; %bb.4619:                             ;   in Loop: Header=BB1_2 Depth=1
	v_add_nc_u32_e32 v10, 0x4000000, v10
; %bb.4620:                             ;   in Loop: Header=BB1_2 Depth=1
	s_or_b32 exec_lo, exec_lo, s98
.LBB1_4621:                             ;   in Loop: Header=BB1_2 Depth=1
	s_and_not1_saveexec_b32 s97, s97
; %bb.4622:                             ;   in Loop: Header=BB1_2 Depth=1
	s_delay_alu instid0(VALU_DEP_1)
	v_add_nc_u32_e32 v10, 0x8000000, v10
; %bb.4623:                             ;   in Loop: Header=BB1_2 Depth=1
	s_or_b32 exec_lo, exec_lo, s97
.LBB1_4624:                             ;   in Loop: Header=BB1_2 Depth=1
	s_and_not1_saveexec_b32 s96, s96
; %bb.4625:                             ;   in Loop: Header=BB1_2 Depth=1
	s_delay_alu instid0(VALU_DEP_1)
	v_add_nc_u32_e32 v10, 0xc000000, v10
; %bb.4626:                             ;   in Loop: Header=BB1_2 Depth=1
	s_or_b32 exec_lo, exec_lo, s96
.LBB1_4627:                             ;   in Loop: Header=BB1_2 Depth=1
	s_and_not1_saveexec_b32 s95, s95
; %bb.4628:                             ;   in Loop: Header=BB1_2 Depth=1
	s_delay_alu instid0(VALU_DEP_1)
	v_add_nc_u32_e32 v10, 0x10000000, v10
; %bb.4629:                             ;   in Loop: Header=BB1_2 Depth=1
	s_or_b32 exec_lo, exec_lo, s95
.LBB1_4630:                             ;   in Loop: Header=BB1_2 Depth=1
	s_and_not1_saveexec_b32 s94, s94
; %bb.4631:                             ;   in Loop: Header=BB1_2 Depth=1
	s_delay_alu instid0(VALU_DEP_1)
	v_add_nc_u32_e32 v10, 0x14000000, v10
; %bb.4632:                             ;   in Loop: Header=BB1_2 Depth=1
	s_or_b32 exec_lo, exec_lo, s94
.LBB1_4633:                             ;   in Loop: Header=BB1_2 Depth=1
	s_and_not1_saveexec_b32 s93, s93
; %bb.4634:                             ;   in Loop: Header=BB1_2 Depth=1
	s_delay_alu instid0(VALU_DEP_1)
	v_add_nc_u32_e32 v10, 0x18000000, v10
; %bb.4635:                             ;   in Loop: Header=BB1_2 Depth=1
	s_or_b32 exec_lo, exec_lo, s93
.LBB1_4636:                             ;   in Loop: Header=BB1_2 Depth=1
	s_and_not1_saveexec_b32 s92, s92
; %bb.4637:                             ;   in Loop: Header=BB1_2 Depth=1
	s_delay_alu instid0(VALU_DEP_1)
	v_add_nc_u32_e32 v10, 0x1c000000, v10
; %bb.4638:                             ;   in Loop: Header=BB1_2 Depth=1
	s_or_b32 exec_lo, exec_lo, s92
.LBB1_4639:                             ;   in Loop: Header=BB1_2 Depth=1
	s_and_not1_saveexec_b32 s91, s91
; %bb.4640:                             ;   in Loop: Header=BB1_2 Depth=1
	s_delay_alu instid0(VALU_DEP_1)
	v_add_nc_u32_e32 v10, 0x20000000, v10
; %bb.4641:                             ;   in Loop: Header=BB1_2 Depth=1
	s_or_b32 exec_lo, exec_lo, s91
.LBB1_4642:                             ;   in Loop: Header=BB1_2 Depth=1
	s_and_not1_saveexec_b32 s90, s90
; %bb.4643:                             ;   in Loop: Header=BB1_2 Depth=1
	s_delay_alu instid0(VALU_DEP_1)
	v_add_nc_u32_e32 v10, 0x24000000, v10
; %bb.4644:                             ;   in Loop: Header=BB1_2 Depth=1
	s_or_b32 exec_lo, exec_lo, s90
.LBB1_4645:                             ;   in Loop: Header=BB1_2 Depth=1
	s_and_not1_saveexec_b32 s89, s89
; %bb.4646:                             ;   in Loop: Header=BB1_2 Depth=1
	s_delay_alu instid0(VALU_DEP_1)
	v_add_nc_u32_e32 v10, 0x28000000, v10
; %bb.4647:                             ;   in Loop: Header=BB1_2 Depth=1
	s_or_b32 exec_lo, exec_lo, s89
.LBB1_4648:                             ;   in Loop: Header=BB1_2 Depth=1
	s_and_not1_saveexec_b32 s88, s88
; %bb.4649:                             ;   in Loop: Header=BB1_2 Depth=1
	s_delay_alu instid0(VALU_DEP_1)
	v_add_nc_u32_e32 v10, 0x2c000000, v10
; %bb.4650:                             ;   in Loop: Header=BB1_2 Depth=1
	s_or_b32 exec_lo, exec_lo, s88
.LBB1_4651:                             ;   in Loop: Header=BB1_2 Depth=1
	s_and_not1_saveexec_b32 s87, s87
; %bb.4652:                             ;   in Loop: Header=BB1_2 Depth=1
	s_delay_alu instid0(VALU_DEP_1)
	v_add_nc_u32_e32 v10, 0x30000000, v10
; %bb.4653:                             ;   in Loop: Header=BB1_2 Depth=1
	s_or_b32 exec_lo, exec_lo, s87
.LBB1_4654:                             ;   in Loop: Header=BB1_2 Depth=1
	s_and_not1_saveexec_b32 s86, s86
; %bb.4655:                             ;   in Loop: Header=BB1_2 Depth=1
	s_delay_alu instid0(VALU_DEP_1)
	v_add_nc_u32_e32 v10, 0x34000000, v10
; %bb.4656:                             ;   in Loop: Header=BB1_2 Depth=1
	s_or_b32 exec_lo, exec_lo, s86
.LBB1_4657:                             ;   in Loop: Header=BB1_2 Depth=1
	s_and_not1_saveexec_b32 s85, s85
; %bb.4658:                             ;   in Loop: Header=BB1_2 Depth=1
	s_delay_alu instid0(VALU_DEP_1)
	v_add_nc_u32_e32 v10, 0x38000000, v10
; %bb.4659:                             ;   in Loop: Header=BB1_2 Depth=1
	s_or_b32 exec_lo, exec_lo, s85
.LBB1_4660:                             ;   in Loop: Header=BB1_2 Depth=1
	s_and_not1_saveexec_b32 s84, s84
; %bb.4661:                             ;   in Loop: Header=BB1_2 Depth=1
	s_delay_alu instid0(VALU_DEP_1)
	v_add_nc_u32_e32 v10, 0x3c000000, v10
; %bb.4662:                             ;   in Loop: Header=BB1_2 Depth=1
	s_or_b32 exec_lo, exec_lo, s84
.LBB1_4663:                             ;   in Loop: Header=BB1_2 Depth=1
	s_and_not1_saveexec_b32 s83, s83
; %bb.4664:                             ;   in Loop: Header=BB1_2 Depth=1
	s_delay_alu instid0(VALU_DEP_1)
	v_add_nc_u32_e32 v10, 2.0, v10
; %bb.4665:                             ;   in Loop: Header=BB1_2 Depth=1
	s_or_b32 exec_lo, exec_lo, s83
.LBB1_4666:                             ;   in Loop: Header=BB1_2 Depth=1
	s_and_not1_saveexec_b32 s82, s82
; %bb.4667:                             ;   in Loop: Header=BB1_2 Depth=1
	s_delay_alu instid0(VALU_DEP_1)
	v_add_nc_u32_e32 v10, 0x44000000, v10
; %bb.4668:                             ;   in Loop: Header=BB1_2 Depth=1
	s_or_b32 exec_lo, exec_lo, s82
.LBB1_4669:                             ;   in Loop: Header=BB1_2 Depth=1
	s_and_not1_saveexec_b32 s81, s81
; %bb.4670:                             ;   in Loop: Header=BB1_2 Depth=1
	s_delay_alu instid0(VALU_DEP_1)
	v_add_nc_u32_e32 v10, 0x48000000, v10
; %bb.4671:                             ;   in Loop: Header=BB1_2 Depth=1
	s_or_b32 exec_lo, exec_lo, s81
.LBB1_4672:                             ;   in Loop: Header=BB1_2 Depth=1
	s_and_not1_saveexec_b32 s80, s80
; %bb.4673:                             ;   in Loop: Header=BB1_2 Depth=1
	s_delay_alu instid0(VALU_DEP_1)
	v_add_nc_u32_e32 v10, 0x4c000000, v10
; %bb.4674:                             ;   in Loop: Header=BB1_2 Depth=1
	s_or_b32 exec_lo, exec_lo, s80
.LBB1_4675:                             ;   in Loop: Header=BB1_2 Depth=1
	s_and_not1_saveexec_b32 s79, s79
; %bb.4676:                             ;   in Loop: Header=BB1_2 Depth=1
	s_delay_alu instid0(VALU_DEP_1)
	v_add_nc_u32_e32 v10, 0x50000000, v10
; %bb.4677:                             ;   in Loop: Header=BB1_2 Depth=1
	s_or_b32 exec_lo, exec_lo, s79
.LBB1_4678:                             ;   in Loop: Header=BB1_2 Depth=1
	s_and_not1_saveexec_b32 s78, s78
; %bb.4679:                             ;   in Loop: Header=BB1_2 Depth=1
	s_delay_alu instid0(VALU_DEP_1)
	v_add_nc_u32_e32 v10, 0x54000000, v10
; %bb.4680:                             ;   in Loop: Header=BB1_2 Depth=1
	s_or_b32 exec_lo, exec_lo, s78
.LBB1_4681:                             ;   in Loop: Header=BB1_2 Depth=1
	s_and_not1_saveexec_b32 s77, s77
; %bb.4682:                             ;   in Loop: Header=BB1_2 Depth=1
	s_delay_alu instid0(VALU_DEP_1)
	v_add_nc_u32_e32 v10, 0x58000000, v10
; %bb.4683:                             ;   in Loop: Header=BB1_2 Depth=1
	s_or_b32 exec_lo, exec_lo, s77
.LBB1_4684:                             ;   in Loop: Header=BB1_2 Depth=1
	s_and_not1_saveexec_b32 s76, s76
; %bb.4685:                             ;   in Loop: Header=BB1_2 Depth=1
	s_delay_alu instid0(VALU_DEP_1)
	v_add_nc_u32_e32 v10, 0x5c000000, v10
; %bb.4686:                             ;   in Loop: Header=BB1_2 Depth=1
	s_or_b32 exec_lo, exec_lo, s76
.LBB1_4687:                             ;   in Loop: Header=BB1_2 Depth=1
	s_and_not1_saveexec_b32 s75, s75
; %bb.4688:                             ;   in Loop: Header=BB1_2 Depth=1
	s_delay_alu instid0(VALU_DEP_1)
	v_add_nc_u32_e32 v10, 0x60000000, v10
; %bb.4689:                             ;   in Loop: Header=BB1_2 Depth=1
	s_or_b32 exec_lo, exec_lo, s75
.LBB1_4690:                             ;   in Loop: Header=BB1_2 Depth=1
	s_and_not1_saveexec_b32 s74, s74
; %bb.4691:                             ;   in Loop: Header=BB1_2 Depth=1
	s_delay_alu instid0(VALU_DEP_1)
	v_add_nc_u32_e32 v10, 0x64000000, v10
; %bb.4692:                             ;   in Loop: Header=BB1_2 Depth=1
	s_or_b32 exec_lo, exec_lo, s74
.LBB1_4693:                             ;   in Loop: Header=BB1_2 Depth=1
	s_and_not1_saveexec_b32 s73, s73
; %bb.4694:                             ;   in Loop: Header=BB1_2 Depth=1
	s_delay_alu instid0(VALU_DEP_1)
	v_add_nc_u32_e32 v10, 0x68000000, v10
; %bb.4695:                             ;   in Loop: Header=BB1_2 Depth=1
	s_or_b32 exec_lo, exec_lo, s73
.LBB1_4696:                             ;   in Loop: Header=BB1_2 Depth=1
	s_and_not1_saveexec_b32 s72, s72
; %bb.4697:                             ;   in Loop: Header=BB1_2 Depth=1
	s_delay_alu instid0(VALU_DEP_1)
	v_add_nc_u32_e32 v10, 0x6c000000, v10
; %bb.4698:                             ;   in Loop: Header=BB1_2 Depth=1
	s_or_b32 exec_lo, exec_lo, s72
.LBB1_4699:                             ;   in Loop: Header=BB1_2 Depth=1
	s_and_not1_saveexec_b32 s35, s35
; %bb.4700:                             ;   in Loop: Header=BB1_2 Depth=1
	s_delay_alu instid0(VALU_DEP_1)
	v_add_nc_u32_e32 v10, 0x70000000, v10
; %bb.4701:                             ;   in Loop: Header=BB1_2 Depth=1
	s_or_b32 exec_lo, exec_lo, s35
.LBB1_4702:                             ;   in Loop: Header=BB1_2 Depth=1
	s_and_not1_saveexec_b32 s34, s34
; %bb.4703:                             ;   in Loop: Header=BB1_2 Depth=1
	s_delay_alu instid0(VALU_DEP_1)
	v_add_nc_u32_e32 v10, 0x74000000, v10
; %bb.4704:                             ;   in Loop: Header=BB1_2 Depth=1
	s_or_b32 exec_lo, exec_lo, s34
.LBB1_4705:                             ;   in Loop: Header=BB1_2 Depth=1
	s_and_not1_saveexec_b32 s33, s33
; %bb.4706:                             ;   in Loop: Header=BB1_2 Depth=1
	s_delay_alu instid0(VALU_DEP_1)
	v_add_nc_u32_e32 v10, 0x78000000, v10
; %bb.4707:                             ;   in Loop: Header=BB1_2 Depth=1
	s_or_b32 exec_lo, exec_lo, s33
.LBB1_4708:                             ;   in Loop: Header=BB1_2 Depth=1
	s_and_not1_saveexec_b32 s31, s31
; %bb.4709:                             ;   in Loop: Header=BB1_2 Depth=1
	s_delay_alu instid0(VALU_DEP_1)
	v_add_nc_u32_e32 v10, 0x7c000000, v10
; %bb.4710:                             ;   in Loop: Header=BB1_2 Depth=1
	s_or_b32 exec_lo, exec_lo, s31
	v_dual_mov_b32 v0, s1 :: v_dual_mov_b32 v9, 0x7c
	v_add3_u32 v11, v8, s30, 0x28000
	s_mov_b32 s31, exec_lo
	ds_load_2addr_b64 v[12:15], v0 offset0:132 offset1:133
	ds_load_b64 v[16:17], v0 offset:1072
	global_store_b32 v11, v10, s[2:3] scale_offset
	s_wait_dscnt 0x1
	v_mul_f64_e32 v[0:1], v[4:5], v[14:15]
	s_delay_alu instid0(VALU_DEP_1) | instskip(SKIP_1) | instid1(VALU_DEP_1)
	v_fmac_f64_e32 v[0:1], v[2:3], v[12:13]
	s_wait_dscnt 0x0
	v_fmac_f64_e32 v[0:1], v[6:7], v[16:17]
	s_wait_xcnt 0x0
	s_delay_alu instid0(VALU_DEP_1)
	v_cmpx_ngt_f64_e32 s[28:29], v[0:1]
	s_cbranch_execz .LBB1_4772
; %bb.4711:                             ;   in Loop: Header=BB1_2 Depth=1
	v_mov_b32_e32 v9, 0x78
	s_mov_b32 s33, exec_lo
	v_cmpx_ngt_f64_e32 s[70:71], v[0:1]
	s_cbranch_execz .LBB1_4771
; %bb.4712:                             ;   in Loop: Header=BB1_2 Depth=1
	v_mov_b32_e32 v9, 0x74
	s_mov_b32 s34, exec_lo
	;; [unrolled: 5-line block ×30, first 2 shown]
	v_cmpx_gt_f64_e32 s[52:53], v[0:1]
; %bb.4741:                             ;   in Loop: Header=BB1_2 Depth=1
	v_mov_b32_e32 v9, 4
; %bb.4742:                             ;   in Loop: Header=BB1_2 Depth=1
	s_or_b32 exec_lo, exec_lo, s98
.LBB1_4743:                             ;   in Loop: Header=BB1_2 Depth=1
	s_delay_alu instid0(SALU_CYCLE_1)
	s_or_b32 exec_lo, exec_lo, s97
.LBB1_4744:                             ;   in Loop: Header=BB1_2 Depth=1
	s_delay_alu instid0(SALU_CYCLE_1)
	s_or_b32 exec_lo, exec_lo, s96
.LBB1_4745:                             ;   in Loop: Header=BB1_2 Depth=1
	s_delay_alu instid0(SALU_CYCLE_1)
	s_or_b32 exec_lo, exec_lo, s95
.LBB1_4746:                             ;   in Loop: Header=BB1_2 Depth=1
	s_delay_alu instid0(SALU_CYCLE_1)
	s_or_b32 exec_lo, exec_lo, s94
.LBB1_4747:                             ;   in Loop: Header=BB1_2 Depth=1
	s_delay_alu instid0(SALU_CYCLE_1)
	s_or_b32 exec_lo, exec_lo, s93
.LBB1_4748:                             ;   in Loop: Header=BB1_2 Depth=1
	s_delay_alu instid0(SALU_CYCLE_1)
	s_or_b32 exec_lo, exec_lo, s92
.LBB1_4749:                             ;   in Loop: Header=BB1_2 Depth=1
	s_delay_alu instid0(SALU_CYCLE_1)
	s_or_b32 exec_lo, exec_lo, s91
.LBB1_4750:                             ;   in Loop: Header=BB1_2 Depth=1
	s_delay_alu instid0(SALU_CYCLE_1)
	s_or_b32 exec_lo, exec_lo, s90
.LBB1_4751:                             ;   in Loop: Header=BB1_2 Depth=1
	s_delay_alu instid0(SALU_CYCLE_1)
	s_or_b32 exec_lo, exec_lo, s89
.LBB1_4752:                             ;   in Loop: Header=BB1_2 Depth=1
	s_delay_alu instid0(SALU_CYCLE_1)
	s_or_b32 exec_lo, exec_lo, s88
.LBB1_4753:                             ;   in Loop: Header=BB1_2 Depth=1
	s_delay_alu instid0(SALU_CYCLE_1)
	s_or_b32 exec_lo, exec_lo, s87
.LBB1_4754:                             ;   in Loop: Header=BB1_2 Depth=1
	s_delay_alu instid0(SALU_CYCLE_1)
	s_or_b32 exec_lo, exec_lo, s86
.LBB1_4755:                             ;   in Loop: Header=BB1_2 Depth=1
	s_delay_alu instid0(SALU_CYCLE_1)
	s_or_b32 exec_lo, exec_lo, s85
.LBB1_4756:                             ;   in Loop: Header=BB1_2 Depth=1
	s_delay_alu instid0(SALU_CYCLE_1)
	s_or_b32 exec_lo, exec_lo, s84
.LBB1_4757:                             ;   in Loop: Header=BB1_2 Depth=1
	s_delay_alu instid0(SALU_CYCLE_1)
	s_or_b32 exec_lo, exec_lo, s83
.LBB1_4758:                             ;   in Loop: Header=BB1_2 Depth=1
	s_delay_alu instid0(SALU_CYCLE_1)
	s_or_b32 exec_lo, exec_lo, s82
.LBB1_4759:                             ;   in Loop: Header=BB1_2 Depth=1
	s_delay_alu instid0(SALU_CYCLE_1)
	s_or_b32 exec_lo, exec_lo, s81
.LBB1_4760:                             ;   in Loop: Header=BB1_2 Depth=1
	s_delay_alu instid0(SALU_CYCLE_1)
	s_or_b32 exec_lo, exec_lo, s80
.LBB1_4761:                             ;   in Loop: Header=BB1_2 Depth=1
	s_delay_alu instid0(SALU_CYCLE_1)
	s_or_b32 exec_lo, exec_lo, s79
.LBB1_4762:                             ;   in Loop: Header=BB1_2 Depth=1
	s_delay_alu instid0(SALU_CYCLE_1)
	s_or_b32 exec_lo, exec_lo, s78
.LBB1_4763:                             ;   in Loop: Header=BB1_2 Depth=1
	s_delay_alu instid0(SALU_CYCLE_1)
	s_or_b32 exec_lo, exec_lo, s77
.LBB1_4764:                             ;   in Loop: Header=BB1_2 Depth=1
	s_delay_alu instid0(SALU_CYCLE_1)
	s_or_b32 exec_lo, exec_lo, s76
.LBB1_4765:                             ;   in Loop: Header=BB1_2 Depth=1
	s_delay_alu instid0(SALU_CYCLE_1)
	s_or_b32 exec_lo, exec_lo, s75
.LBB1_4766:                             ;   in Loop: Header=BB1_2 Depth=1
	s_delay_alu instid0(SALU_CYCLE_1)
	s_or_b32 exec_lo, exec_lo, s74
.LBB1_4767:                             ;   in Loop: Header=BB1_2 Depth=1
	s_delay_alu instid0(SALU_CYCLE_1)
	s_or_b32 exec_lo, exec_lo, s73
.LBB1_4768:                             ;   in Loop: Header=BB1_2 Depth=1
	s_delay_alu instid0(SALU_CYCLE_1)
	s_or_b32 exec_lo, exec_lo, s72
.LBB1_4769:                             ;   in Loop: Header=BB1_2 Depth=1
	s_delay_alu instid0(SALU_CYCLE_1)
	s_or_b32 exec_lo, exec_lo, s35
.LBB1_4770:                             ;   in Loop: Header=BB1_2 Depth=1
	s_delay_alu instid0(SALU_CYCLE_1)
	s_or_b32 exec_lo, exec_lo, s34
.LBB1_4771:                             ;   in Loop: Header=BB1_2 Depth=1
	s_delay_alu instid0(SALU_CYCLE_1)
	s_or_b32 exec_lo, exec_lo, s33
.LBB1_4772:                             ;   in Loop: Header=BB1_2 Depth=1
	s_delay_alu instid0(SALU_CYCLE_1)
	s_or_b32 exec_lo, exec_lo, s31
	v_mov_b32_e32 v0, s1
	s_mov_b32 s31, exec_lo
	ds_load_2addr_b64 v[10:13], v0 offset0:135 offset1:136
	ds_load_b64 v[14:15], v0 offset:1096
	s_wait_dscnt 0x1
	v_mul_f64_e32 v[0:1], v[4:5], v[12:13]
	s_delay_alu instid0(VALU_DEP_1) | instskip(SKIP_1) | instid1(VALU_DEP_1)
	v_fmac_f64_e32 v[0:1], v[2:3], v[10:11]
	s_wait_dscnt 0x0
	v_fmac_f64_e32 v[0:1], v[6:7], v[14:15]
	s_delay_alu instid0(VALU_DEP_1)
	v_cmpx_ngt_f64_e32 s[28:29], v[0:1]
	s_xor_b32 s31, exec_lo, s31
	s_cbranch_execz .LBB1_4892
; %bb.4773:                             ;   in Loop: Header=BB1_2 Depth=1
	s_mov_b32 s33, exec_lo
	v_cmpx_ngt_f64_e32 s[70:71], v[0:1]
	s_xor_b32 s33, exec_lo, s33
	s_cbranch_execz .LBB1_4889
; %bb.4774:                             ;   in Loop: Header=BB1_2 Depth=1
	s_mov_b32 s34, exec_lo
	;; [unrolled: 5-line block ×30, first 2 shown]
	v_cmpx_gt_f64_e32 s[52:53], v[0:1]
; %bb.4803:                             ;   in Loop: Header=BB1_2 Depth=1
	v_or_b32_e32 v9, 0x400, v9
; %bb.4804:                             ;   in Loop: Header=BB1_2 Depth=1
	s_or_b32 exec_lo, exec_lo, s98
.LBB1_4805:                             ;   in Loop: Header=BB1_2 Depth=1
	s_and_not1_saveexec_b32 s97, s97
; %bb.4806:                             ;   in Loop: Header=BB1_2 Depth=1
	s_delay_alu instid0(VALU_DEP_1)
	v_or_b32_e32 v9, 0x800, v9
; %bb.4807:                             ;   in Loop: Header=BB1_2 Depth=1
	s_or_b32 exec_lo, exec_lo, s97
.LBB1_4808:                             ;   in Loop: Header=BB1_2 Depth=1
	s_and_not1_saveexec_b32 s96, s96
; %bb.4809:                             ;   in Loop: Header=BB1_2 Depth=1
	s_delay_alu instid0(VALU_DEP_1)
	v_or_b32_e32 v9, 0xc00, v9
; %bb.4810:                             ;   in Loop: Header=BB1_2 Depth=1
	s_or_b32 exec_lo, exec_lo, s96
.LBB1_4811:                             ;   in Loop: Header=BB1_2 Depth=1
	s_and_not1_saveexec_b32 s95, s95
; %bb.4812:                             ;   in Loop: Header=BB1_2 Depth=1
	s_delay_alu instid0(VALU_DEP_1)
	v_or_b32_e32 v9, 0x1000, v9
; %bb.4813:                             ;   in Loop: Header=BB1_2 Depth=1
	s_or_b32 exec_lo, exec_lo, s95
.LBB1_4814:                             ;   in Loop: Header=BB1_2 Depth=1
	s_and_not1_saveexec_b32 s94, s94
; %bb.4815:                             ;   in Loop: Header=BB1_2 Depth=1
	s_delay_alu instid0(VALU_DEP_1)
	v_or_b32_e32 v9, 0x1400, v9
; %bb.4816:                             ;   in Loop: Header=BB1_2 Depth=1
	s_or_b32 exec_lo, exec_lo, s94
.LBB1_4817:                             ;   in Loop: Header=BB1_2 Depth=1
	s_and_not1_saveexec_b32 s93, s93
; %bb.4818:                             ;   in Loop: Header=BB1_2 Depth=1
	s_delay_alu instid0(VALU_DEP_1)
	v_or_b32_e32 v9, 0x1800, v9
; %bb.4819:                             ;   in Loop: Header=BB1_2 Depth=1
	s_or_b32 exec_lo, exec_lo, s93
.LBB1_4820:                             ;   in Loop: Header=BB1_2 Depth=1
	s_and_not1_saveexec_b32 s92, s92
; %bb.4821:                             ;   in Loop: Header=BB1_2 Depth=1
	s_delay_alu instid0(VALU_DEP_1)
	v_or_b32_e32 v9, 0x1c00, v9
; %bb.4822:                             ;   in Loop: Header=BB1_2 Depth=1
	s_or_b32 exec_lo, exec_lo, s92
.LBB1_4823:                             ;   in Loop: Header=BB1_2 Depth=1
	s_and_not1_saveexec_b32 s91, s91
; %bb.4824:                             ;   in Loop: Header=BB1_2 Depth=1
	s_delay_alu instid0(VALU_DEP_1)
	v_or_b32_e32 v9, 0x2000, v9
; %bb.4825:                             ;   in Loop: Header=BB1_2 Depth=1
	s_or_b32 exec_lo, exec_lo, s91
.LBB1_4826:                             ;   in Loop: Header=BB1_2 Depth=1
	s_and_not1_saveexec_b32 s90, s90
; %bb.4827:                             ;   in Loop: Header=BB1_2 Depth=1
	s_delay_alu instid0(VALU_DEP_1)
	v_or_b32_e32 v9, 0x2400, v9
; %bb.4828:                             ;   in Loop: Header=BB1_2 Depth=1
	s_or_b32 exec_lo, exec_lo, s90
.LBB1_4829:                             ;   in Loop: Header=BB1_2 Depth=1
	s_and_not1_saveexec_b32 s89, s89
; %bb.4830:                             ;   in Loop: Header=BB1_2 Depth=1
	s_delay_alu instid0(VALU_DEP_1)
	v_or_b32_e32 v9, 0x2800, v9
; %bb.4831:                             ;   in Loop: Header=BB1_2 Depth=1
	s_or_b32 exec_lo, exec_lo, s89
.LBB1_4832:                             ;   in Loop: Header=BB1_2 Depth=1
	s_and_not1_saveexec_b32 s88, s88
; %bb.4833:                             ;   in Loop: Header=BB1_2 Depth=1
	s_delay_alu instid0(VALU_DEP_1)
	v_or_b32_e32 v9, 0x2c00, v9
; %bb.4834:                             ;   in Loop: Header=BB1_2 Depth=1
	s_or_b32 exec_lo, exec_lo, s88
.LBB1_4835:                             ;   in Loop: Header=BB1_2 Depth=1
	s_and_not1_saveexec_b32 s87, s87
; %bb.4836:                             ;   in Loop: Header=BB1_2 Depth=1
	s_delay_alu instid0(VALU_DEP_1)
	v_or_b32_e32 v9, 0x3000, v9
; %bb.4837:                             ;   in Loop: Header=BB1_2 Depth=1
	s_or_b32 exec_lo, exec_lo, s87
.LBB1_4838:                             ;   in Loop: Header=BB1_2 Depth=1
	s_and_not1_saveexec_b32 s86, s86
; %bb.4839:                             ;   in Loop: Header=BB1_2 Depth=1
	s_delay_alu instid0(VALU_DEP_1)
	v_or_b32_e32 v9, 0x3400, v9
; %bb.4840:                             ;   in Loop: Header=BB1_2 Depth=1
	s_or_b32 exec_lo, exec_lo, s86
.LBB1_4841:                             ;   in Loop: Header=BB1_2 Depth=1
	s_and_not1_saveexec_b32 s85, s85
; %bb.4842:                             ;   in Loop: Header=BB1_2 Depth=1
	s_delay_alu instid0(VALU_DEP_1)
	v_or_b32_e32 v9, 0x3800, v9
; %bb.4843:                             ;   in Loop: Header=BB1_2 Depth=1
	s_or_b32 exec_lo, exec_lo, s85
.LBB1_4844:                             ;   in Loop: Header=BB1_2 Depth=1
	s_and_not1_saveexec_b32 s84, s84
; %bb.4845:                             ;   in Loop: Header=BB1_2 Depth=1
	s_delay_alu instid0(VALU_DEP_1)
	v_or_b32_e32 v9, 0x3c00, v9
; %bb.4846:                             ;   in Loop: Header=BB1_2 Depth=1
	s_or_b32 exec_lo, exec_lo, s84
.LBB1_4847:                             ;   in Loop: Header=BB1_2 Depth=1
	s_and_not1_saveexec_b32 s83, s83
; %bb.4848:                             ;   in Loop: Header=BB1_2 Depth=1
	s_delay_alu instid0(VALU_DEP_1)
	v_or_b32_e32 v9, 0x4000, v9
; %bb.4849:                             ;   in Loop: Header=BB1_2 Depth=1
	s_or_b32 exec_lo, exec_lo, s83
.LBB1_4850:                             ;   in Loop: Header=BB1_2 Depth=1
	s_and_not1_saveexec_b32 s82, s82
; %bb.4851:                             ;   in Loop: Header=BB1_2 Depth=1
	s_delay_alu instid0(VALU_DEP_1)
	v_or_b32_e32 v9, 0x4400, v9
; %bb.4852:                             ;   in Loop: Header=BB1_2 Depth=1
	s_or_b32 exec_lo, exec_lo, s82
.LBB1_4853:                             ;   in Loop: Header=BB1_2 Depth=1
	s_and_not1_saveexec_b32 s81, s81
; %bb.4854:                             ;   in Loop: Header=BB1_2 Depth=1
	s_delay_alu instid0(VALU_DEP_1)
	v_or_b32_e32 v9, 0x4800, v9
; %bb.4855:                             ;   in Loop: Header=BB1_2 Depth=1
	s_or_b32 exec_lo, exec_lo, s81
.LBB1_4856:                             ;   in Loop: Header=BB1_2 Depth=1
	s_and_not1_saveexec_b32 s80, s80
; %bb.4857:                             ;   in Loop: Header=BB1_2 Depth=1
	s_delay_alu instid0(VALU_DEP_1)
	v_or_b32_e32 v9, 0x4c00, v9
; %bb.4858:                             ;   in Loop: Header=BB1_2 Depth=1
	s_or_b32 exec_lo, exec_lo, s80
.LBB1_4859:                             ;   in Loop: Header=BB1_2 Depth=1
	s_and_not1_saveexec_b32 s79, s79
; %bb.4860:                             ;   in Loop: Header=BB1_2 Depth=1
	s_delay_alu instid0(VALU_DEP_1)
	v_or_b32_e32 v9, 0x5000, v9
; %bb.4861:                             ;   in Loop: Header=BB1_2 Depth=1
	s_or_b32 exec_lo, exec_lo, s79
.LBB1_4862:                             ;   in Loop: Header=BB1_2 Depth=1
	s_and_not1_saveexec_b32 s78, s78
; %bb.4863:                             ;   in Loop: Header=BB1_2 Depth=1
	s_delay_alu instid0(VALU_DEP_1)
	v_or_b32_e32 v9, 0x5400, v9
; %bb.4864:                             ;   in Loop: Header=BB1_2 Depth=1
	s_or_b32 exec_lo, exec_lo, s78
.LBB1_4865:                             ;   in Loop: Header=BB1_2 Depth=1
	s_and_not1_saveexec_b32 s77, s77
; %bb.4866:                             ;   in Loop: Header=BB1_2 Depth=1
	s_delay_alu instid0(VALU_DEP_1)
	v_or_b32_e32 v9, 0x5800, v9
; %bb.4867:                             ;   in Loop: Header=BB1_2 Depth=1
	s_or_b32 exec_lo, exec_lo, s77
.LBB1_4868:                             ;   in Loop: Header=BB1_2 Depth=1
	s_and_not1_saveexec_b32 s76, s76
; %bb.4869:                             ;   in Loop: Header=BB1_2 Depth=1
	s_delay_alu instid0(VALU_DEP_1)
	v_or_b32_e32 v9, 0x5c00, v9
; %bb.4870:                             ;   in Loop: Header=BB1_2 Depth=1
	s_or_b32 exec_lo, exec_lo, s76
.LBB1_4871:                             ;   in Loop: Header=BB1_2 Depth=1
	s_and_not1_saveexec_b32 s75, s75
; %bb.4872:                             ;   in Loop: Header=BB1_2 Depth=1
	s_delay_alu instid0(VALU_DEP_1)
	v_or_b32_e32 v9, 0x6000, v9
; %bb.4873:                             ;   in Loop: Header=BB1_2 Depth=1
	s_or_b32 exec_lo, exec_lo, s75
.LBB1_4874:                             ;   in Loop: Header=BB1_2 Depth=1
	s_and_not1_saveexec_b32 s74, s74
; %bb.4875:                             ;   in Loop: Header=BB1_2 Depth=1
	s_delay_alu instid0(VALU_DEP_1)
	v_or_b32_e32 v9, 0x6400, v9
; %bb.4876:                             ;   in Loop: Header=BB1_2 Depth=1
	s_or_b32 exec_lo, exec_lo, s74
.LBB1_4877:                             ;   in Loop: Header=BB1_2 Depth=1
	s_and_not1_saveexec_b32 s73, s73
; %bb.4878:                             ;   in Loop: Header=BB1_2 Depth=1
	s_delay_alu instid0(VALU_DEP_1)
	v_or_b32_e32 v9, 0x6800, v9
; %bb.4879:                             ;   in Loop: Header=BB1_2 Depth=1
	s_or_b32 exec_lo, exec_lo, s73
.LBB1_4880:                             ;   in Loop: Header=BB1_2 Depth=1
	s_and_not1_saveexec_b32 s72, s72
; %bb.4881:                             ;   in Loop: Header=BB1_2 Depth=1
	s_delay_alu instid0(VALU_DEP_1)
	v_or_b32_e32 v9, 0x6c00, v9
; %bb.4882:                             ;   in Loop: Header=BB1_2 Depth=1
	s_or_b32 exec_lo, exec_lo, s72
.LBB1_4883:                             ;   in Loop: Header=BB1_2 Depth=1
	s_and_not1_saveexec_b32 s35, s35
; %bb.4884:                             ;   in Loop: Header=BB1_2 Depth=1
	s_delay_alu instid0(VALU_DEP_1)
	v_or_b32_e32 v9, 0x7000, v9
; %bb.4885:                             ;   in Loop: Header=BB1_2 Depth=1
	s_or_b32 exec_lo, exec_lo, s35
.LBB1_4886:                             ;   in Loop: Header=BB1_2 Depth=1
	s_and_not1_saveexec_b32 s34, s34
; %bb.4887:                             ;   in Loop: Header=BB1_2 Depth=1
	s_delay_alu instid0(VALU_DEP_1)
	v_or_b32_e32 v9, 0x7400, v9
; %bb.4888:                             ;   in Loop: Header=BB1_2 Depth=1
	s_or_b32 exec_lo, exec_lo, s34
.LBB1_4889:                             ;   in Loop: Header=BB1_2 Depth=1
	s_and_not1_saveexec_b32 s33, s33
; %bb.4890:                             ;   in Loop: Header=BB1_2 Depth=1
	s_delay_alu instid0(VALU_DEP_1)
	v_or_b32_e32 v9, 0x7800, v9
; %bb.4891:                             ;   in Loop: Header=BB1_2 Depth=1
	s_or_b32 exec_lo, exec_lo, s33
.LBB1_4892:                             ;   in Loop: Header=BB1_2 Depth=1
	s_and_not1_saveexec_b32 s31, s31
; %bb.4893:                             ;   in Loop: Header=BB1_2 Depth=1
	s_delay_alu instid0(VALU_DEP_1)
	v_or_b32_e32 v9, 0x7c00, v9
; %bb.4894:                             ;   in Loop: Header=BB1_2 Depth=1
	s_or_b32 exec_lo, exec_lo, s31
	v_mov_b32_e32 v0, s1
	s_mov_b32 s31, exec_lo
	ds_load_2addr_b64 v[10:13], v0 offset0:138 offset1:139
	ds_load_b64 v[14:15], v0 offset:1120
	s_wait_dscnt 0x1
	v_mul_f64_e32 v[0:1], v[4:5], v[12:13]
	s_delay_alu instid0(VALU_DEP_1) | instskip(SKIP_1) | instid1(VALU_DEP_1)
	v_fmac_f64_e32 v[0:1], v[2:3], v[10:11]
	s_wait_dscnt 0x0
	v_fmac_f64_e32 v[0:1], v[6:7], v[14:15]
	s_delay_alu instid0(VALU_DEP_1)
	v_cmpx_ngt_f64_e32 s[28:29], v[0:1]
	s_xor_b32 s31, exec_lo, s31
	s_cbranch_execz .LBB1_5014
; %bb.4895:                             ;   in Loop: Header=BB1_2 Depth=1
	s_mov_b32 s33, exec_lo
	v_cmpx_ngt_f64_e32 s[70:71], v[0:1]
	s_xor_b32 s33, exec_lo, s33
	s_cbranch_execz .LBB1_5011
; %bb.4896:                             ;   in Loop: Header=BB1_2 Depth=1
	s_mov_b32 s34, exec_lo
	;; [unrolled: 5-line block ×30, first 2 shown]
	v_cmpx_gt_f64_e32 s[52:53], v[0:1]
; %bb.4925:                             ;   in Loop: Header=BB1_2 Depth=1
	v_add_nc_u32_e32 v9, 0x40000, v9
; %bb.4926:                             ;   in Loop: Header=BB1_2 Depth=1
	s_or_b32 exec_lo, exec_lo, s98
.LBB1_4927:                             ;   in Loop: Header=BB1_2 Depth=1
	s_and_not1_saveexec_b32 s97, s97
; %bb.4928:                             ;   in Loop: Header=BB1_2 Depth=1
	s_delay_alu instid0(VALU_DEP_1)
	v_add_nc_u32_e32 v9, 0x80000, v9
; %bb.4929:                             ;   in Loop: Header=BB1_2 Depth=1
	s_or_b32 exec_lo, exec_lo, s97
.LBB1_4930:                             ;   in Loop: Header=BB1_2 Depth=1
	s_and_not1_saveexec_b32 s96, s96
; %bb.4931:                             ;   in Loop: Header=BB1_2 Depth=1
	s_delay_alu instid0(VALU_DEP_1)
	v_add_nc_u32_e32 v9, 0xc0000, v9
; %bb.4932:                             ;   in Loop: Header=BB1_2 Depth=1
	s_or_b32 exec_lo, exec_lo, s96
.LBB1_4933:                             ;   in Loop: Header=BB1_2 Depth=1
	s_and_not1_saveexec_b32 s95, s95
; %bb.4934:                             ;   in Loop: Header=BB1_2 Depth=1
	s_delay_alu instid0(VALU_DEP_1)
	v_add_nc_u32_e32 v9, 0x100000, v9
; %bb.4935:                             ;   in Loop: Header=BB1_2 Depth=1
	s_or_b32 exec_lo, exec_lo, s95
.LBB1_4936:                             ;   in Loop: Header=BB1_2 Depth=1
	s_and_not1_saveexec_b32 s94, s94
; %bb.4937:                             ;   in Loop: Header=BB1_2 Depth=1
	s_delay_alu instid0(VALU_DEP_1)
	v_add_nc_u32_e32 v9, 0x140000, v9
; %bb.4938:                             ;   in Loop: Header=BB1_2 Depth=1
	s_or_b32 exec_lo, exec_lo, s94
.LBB1_4939:                             ;   in Loop: Header=BB1_2 Depth=1
	s_and_not1_saveexec_b32 s93, s93
; %bb.4940:                             ;   in Loop: Header=BB1_2 Depth=1
	s_delay_alu instid0(VALU_DEP_1)
	v_add_nc_u32_e32 v9, 0x180000, v9
; %bb.4941:                             ;   in Loop: Header=BB1_2 Depth=1
	s_or_b32 exec_lo, exec_lo, s93
.LBB1_4942:                             ;   in Loop: Header=BB1_2 Depth=1
	s_and_not1_saveexec_b32 s92, s92
; %bb.4943:                             ;   in Loop: Header=BB1_2 Depth=1
	s_delay_alu instid0(VALU_DEP_1)
	v_add_nc_u32_e32 v9, 0x1c0000, v9
; %bb.4944:                             ;   in Loop: Header=BB1_2 Depth=1
	s_or_b32 exec_lo, exec_lo, s92
.LBB1_4945:                             ;   in Loop: Header=BB1_2 Depth=1
	s_and_not1_saveexec_b32 s91, s91
; %bb.4946:                             ;   in Loop: Header=BB1_2 Depth=1
	s_delay_alu instid0(VALU_DEP_1)
	v_add_nc_u32_e32 v9, 0x200000, v9
; %bb.4947:                             ;   in Loop: Header=BB1_2 Depth=1
	s_or_b32 exec_lo, exec_lo, s91
.LBB1_4948:                             ;   in Loop: Header=BB1_2 Depth=1
	s_and_not1_saveexec_b32 s90, s90
; %bb.4949:                             ;   in Loop: Header=BB1_2 Depth=1
	s_delay_alu instid0(VALU_DEP_1)
	v_add_nc_u32_e32 v9, 0x240000, v9
; %bb.4950:                             ;   in Loop: Header=BB1_2 Depth=1
	s_or_b32 exec_lo, exec_lo, s90
.LBB1_4951:                             ;   in Loop: Header=BB1_2 Depth=1
	s_and_not1_saveexec_b32 s89, s89
; %bb.4952:                             ;   in Loop: Header=BB1_2 Depth=1
	s_delay_alu instid0(VALU_DEP_1)
	v_add_nc_u32_e32 v9, 0x280000, v9
; %bb.4953:                             ;   in Loop: Header=BB1_2 Depth=1
	s_or_b32 exec_lo, exec_lo, s89
.LBB1_4954:                             ;   in Loop: Header=BB1_2 Depth=1
	s_and_not1_saveexec_b32 s88, s88
; %bb.4955:                             ;   in Loop: Header=BB1_2 Depth=1
	s_delay_alu instid0(VALU_DEP_1)
	v_add_nc_u32_e32 v9, 0x2c0000, v9
; %bb.4956:                             ;   in Loop: Header=BB1_2 Depth=1
	s_or_b32 exec_lo, exec_lo, s88
.LBB1_4957:                             ;   in Loop: Header=BB1_2 Depth=1
	s_and_not1_saveexec_b32 s87, s87
; %bb.4958:                             ;   in Loop: Header=BB1_2 Depth=1
	s_delay_alu instid0(VALU_DEP_1)
	v_add_nc_u32_e32 v9, 0x300000, v9
; %bb.4959:                             ;   in Loop: Header=BB1_2 Depth=1
	s_or_b32 exec_lo, exec_lo, s87
.LBB1_4960:                             ;   in Loop: Header=BB1_2 Depth=1
	s_and_not1_saveexec_b32 s86, s86
; %bb.4961:                             ;   in Loop: Header=BB1_2 Depth=1
	s_delay_alu instid0(VALU_DEP_1)
	v_add_nc_u32_e32 v9, 0x340000, v9
; %bb.4962:                             ;   in Loop: Header=BB1_2 Depth=1
	s_or_b32 exec_lo, exec_lo, s86
.LBB1_4963:                             ;   in Loop: Header=BB1_2 Depth=1
	s_and_not1_saveexec_b32 s85, s85
; %bb.4964:                             ;   in Loop: Header=BB1_2 Depth=1
	s_delay_alu instid0(VALU_DEP_1)
	v_add_nc_u32_e32 v9, 0x380000, v9
; %bb.4965:                             ;   in Loop: Header=BB1_2 Depth=1
	s_or_b32 exec_lo, exec_lo, s85
.LBB1_4966:                             ;   in Loop: Header=BB1_2 Depth=1
	s_and_not1_saveexec_b32 s84, s84
; %bb.4967:                             ;   in Loop: Header=BB1_2 Depth=1
	s_delay_alu instid0(VALU_DEP_1)
	v_add_nc_u32_e32 v9, 0x3c0000, v9
; %bb.4968:                             ;   in Loop: Header=BB1_2 Depth=1
	s_or_b32 exec_lo, exec_lo, s84
.LBB1_4969:                             ;   in Loop: Header=BB1_2 Depth=1
	s_and_not1_saveexec_b32 s83, s83
; %bb.4970:                             ;   in Loop: Header=BB1_2 Depth=1
	s_delay_alu instid0(VALU_DEP_1)
	v_add_nc_u32_e32 v9, 0x400000, v9
; %bb.4971:                             ;   in Loop: Header=BB1_2 Depth=1
	s_or_b32 exec_lo, exec_lo, s83
.LBB1_4972:                             ;   in Loop: Header=BB1_2 Depth=1
	s_and_not1_saveexec_b32 s82, s82
; %bb.4973:                             ;   in Loop: Header=BB1_2 Depth=1
	s_delay_alu instid0(VALU_DEP_1)
	v_add_nc_u32_e32 v9, 0x440000, v9
; %bb.4974:                             ;   in Loop: Header=BB1_2 Depth=1
	s_or_b32 exec_lo, exec_lo, s82
.LBB1_4975:                             ;   in Loop: Header=BB1_2 Depth=1
	s_and_not1_saveexec_b32 s81, s81
; %bb.4976:                             ;   in Loop: Header=BB1_2 Depth=1
	s_delay_alu instid0(VALU_DEP_1)
	v_add_nc_u32_e32 v9, 0x480000, v9
; %bb.4977:                             ;   in Loop: Header=BB1_2 Depth=1
	s_or_b32 exec_lo, exec_lo, s81
.LBB1_4978:                             ;   in Loop: Header=BB1_2 Depth=1
	s_and_not1_saveexec_b32 s80, s80
; %bb.4979:                             ;   in Loop: Header=BB1_2 Depth=1
	s_delay_alu instid0(VALU_DEP_1)
	v_add_nc_u32_e32 v9, 0x4c0000, v9
; %bb.4980:                             ;   in Loop: Header=BB1_2 Depth=1
	s_or_b32 exec_lo, exec_lo, s80
.LBB1_4981:                             ;   in Loop: Header=BB1_2 Depth=1
	s_and_not1_saveexec_b32 s79, s79
; %bb.4982:                             ;   in Loop: Header=BB1_2 Depth=1
	s_delay_alu instid0(VALU_DEP_1)
	v_add_nc_u32_e32 v9, 0x500000, v9
; %bb.4983:                             ;   in Loop: Header=BB1_2 Depth=1
	s_or_b32 exec_lo, exec_lo, s79
.LBB1_4984:                             ;   in Loop: Header=BB1_2 Depth=1
	s_and_not1_saveexec_b32 s78, s78
; %bb.4985:                             ;   in Loop: Header=BB1_2 Depth=1
	s_delay_alu instid0(VALU_DEP_1)
	v_add_nc_u32_e32 v9, 0x540000, v9
; %bb.4986:                             ;   in Loop: Header=BB1_2 Depth=1
	s_or_b32 exec_lo, exec_lo, s78
.LBB1_4987:                             ;   in Loop: Header=BB1_2 Depth=1
	s_and_not1_saveexec_b32 s77, s77
; %bb.4988:                             ;   in Loop: Header=BB1_2 Depth=1
	s_delay_alu instid0(VALU_DEP_1)
	v_add_nc_u32_e32 v9, 0x580000, v9
; %bb.4989:                             ;   in Loop: Header=BB1_2 Depth=1
	s_or_b32 exec_lo, exec_lo, s77
.LBB1_4990:                             ;   in Loop: Header=BB1_2 Depth=1
	s_and_not1_saveexec_b32 s76, s76
; %bb.4991:                             ;   in Loop: Header=BB1_2 Depth=1
	s_delay_alu instid0(VALU_DEP_1)
	v_add_nc_u32_e32 v9, 0x5c0000, v9
; %bb.4992:                             ;   in Loop: Header=BB1_2 Depth=1
	s_or_b32 exec_lo, exec_lo, s76
.LBB1_4993:                             ;   in Loop: Header=BB1_2 Depth=1
	s_and_not1_saveexec_b32 s75, s75
; %bb.4994:                             ;   in Loop: Header=BB1_2 Depth=1
	s_delay_alu instid0(VALU_DEP_1)
	v_add_nc_u32_e32 v9, 0x600000, v9
; %bb.4995:                             ;   in Loop: Header=BB1_2 Depth=1
	s_or_b32 exec_lo, exec_lo, s75
.LBB1_4996:                             ;   in Loop: Header=BB1_2 Depth=1
	s_and_not1_saveexec_b32 s74, s74
; %bb.4997:                             ;   in Loop: Header=BB1_2 Depth=1
	s_delay_alu instid0(VALU_DEP_1)
	v_add_nc_u32_e32 v9, 0x640000, v9
; %bb.4998:                             ;   in Loop: Header=BB1_2 Depth=1
	s_or_b32 exec_lo, exec_lo, s74
.LBB1_4999:                             ;   in Loop: Header=BB1_2 Depth=1
	s_and_not1_saveexec_b32 s73, s73
; %bb.5000:                             ;   in Loop: Header=BB1_2 Depth=1
	s_delay_alu instid0(VALU_DEP_1)
	v_add_nc_u32_e32 v9, 0x680000, v9
; %bb.5001:                             ;   in Loop: Header=BB1_2 Depth=1
	s_or_b32 exec_lo, exec_lo, s73
.LBB1_5002:                             ;   in Loop: Header=BB1_2 Depth=1
	s_and_not1_saveexec_b32 s72, s72
; %bb.5003:                             ;   in Loop: Header=BB1_2 Depth=1
	s_delay_alu instid0(VALU_DEP_1)
	v_add_nc_u32_e32 v9, 0x6c0000, v9
; %bb.5004:                             ;   in Loop: Header=BB1_2 Depth=1
	s_or_b32 exec_lo, exec_lo, s72
.LBB1_5005:                             ;   in Loop: Header=BB1_2 Depth=1
	s_and_not1_saveexec_b32 s35, s35
; %bb.5006:                             ;   in Loop: Header=BB1_2 Depth=1
	s_delay_alu instid0(VALU_DEP_1)
	v_add_nc_u32_e32 v9, 0x700000, v9
; %bb.5007:                             ;   in Loop: Header=BB1_2 Depth=1
	s_or_b32 exec_lo, exec_lo, s35
.LBB1_5008:                             ;   in Loop: Header=BB1_2 Depth=1
	s_and_not1_saveexec_b32 s34, s34
; %bb.5009:                             ;   in Loop: Header=BB1_2 Depth=1
	s_delay_alu instid0(VALU_DEP_1)
	v_add_nc_u32_e32 v9, 0x740000, v9
; %bb.5010:                             ;   in Loop: Header=BB1_2 Depth=1
	s_or_b32 exec_lo, exec_lo, s34
.LBB1_5011:                             ;   in Loop: Header=BB1_2 Depth=1
	s_and_not1_saveexec_b32 s33, s33
; %bb.5012:                             ;   in Loop: Header=BB1_2 Depth=1
	s_delay_alu instid0(VALU_DEP_1)
	v_add_nc_u32_e32 v9, 0x780000, v9
; %bb.5013:                             ;   in Loop: Header=BB1_2 Depth=1
	s_or_b32 exec_lo, exec_lo, s33
.LBB1_5014:                             ;   in Loop: Header=BB1_2 Depth=1
	s_and_not1_saveexec_b32 s31, s31
; %bb.5015:                             ;   in Loop: Header=BB1_2 Depth=1
	s_delay_alu instid0(VALU_DEP_1)
	v_add_nc_u32_e32 v9, 0x7c0000, v9
; %bb.5016:                             ;   in Loop: Header=BB1_2 Depth=1
	s_or_b32 exec_lo, exec_lo, s31
	v_mov_b32_e32 v0, s1
	s_mov_b32 s31, exec_lo
	ds_load_2addr_b64 v[10:13], v0 offset0:141 offset1:142
	ds_load_b64 v[14:15], v0 offset:1144
	s_wait_dscnt 0x1
	v_mul_f64_e32 v[0:1], v[4:5], v[12:13]
	s_delay_alu instid0(VALU_DEP_1) | instskip(SKIP_1) | instid1(VALU_DEP_1)
	v_fmac_f64_e32 v[0:1], v[2:3], v[10:11]
	s_wait_dscnt 0x0
	v_fmac_f64_e32 v[0:1], v[6:7], v[14:15]
	s_delay_alu instid0(VALU_DEP_1)
	v_cmpx_ngt_f64_e32 s[28:29], v[0:1]
	s_xor_b32 s31, exec_lo, s31
	s_cbranch_execz .LBB1_5136
; %bb.5017:                             ;   in Loop: Header=BB1_2 Depth=1
	s_mov_b32 s33, exec_lo
	v_cmpx_ngt_f64_e32 s[70:71], v[0:1]
	s_xor_b32 s33, exec_lo, s33
	s_cbranch_execz .LBB1_5133
; %bb.5018:                             ;   in Loop: Header=BB1_2 Depth=1
	s_mov_b32 s34, exec_lo
	;; [unrolled: 5-line block ×30, first 2 shown]
	v_cmpx_gt_f64_e32 s[52:53], v[0:1]
; %bb.5047:                             ;   in Loop: Header=BB1_2 Depth=1
	v_add_nc_u32_e32 v9, 0x4000000, v9
; %bb.5048:                             ;   in Loop: Header=BB1_2 Depth=1
	s_or_b32 exec_lo, exec_lo, s98
.LBB1_5049:                             ;   in Loop: Header=BB1_2 Depth=1
	s_and_not1_saveexec_b32 s97, s97
; %bb.5050:                             ;   in Loop: Header=BB1_2 Depth=1
	s_delay_alu instid0(VALU_DEP_1)
	v_add_nc_u32_e32 v9, 0x8000000, v9
; %bb.5051:                             ;   in Loop: Header=BB1_2 Depth=1
	s_or_b32 exec_lo, exec_lo, s97
.LBB1_5052:                             ;   in Loop: Header=BB1_2 Depth=1
	s_and_not1_saveexec_b32 s96, s96
; %bb.5053:                             ;   in Loop: Header=BB1_2 Depth=1
	s_delay_alu instid0(VALU_DEP_1)
	v_add_nc_u32_e32 v9, 0xc000000, v9
; %bb.5054:                             ;   in Loop: Header=BB1_2 Depth=1
	s_or_b32 exec_lo, exec_lo, s96
.LBB1_5055:                             ;   in Loop: Header=BB1_2 Depth=1
	s_and_not1_saveexec_b32 s95, s95
; %bb.5056:                             ;   in Loop: Header=BB1_2 Depth=1
	s_delay_alu instid0(VALU_DEP_1)
	v_add_nc_u32_e32 v9, 0x10000000, v9
; %bb.5057:                             ;   in Loop: Header=BB1_2 Depth=1
	s_or_b32 exec_lo, exec_lo, s95
.LBB1_5058:                             ;   in Loop: Header=BB1_2 Depth=1
	s_and_not1_saveexec_b32 s94, s94
; %bb.5059:                             ;   in Loop: Header=BB1_2 Depth=1
	s_delay_alu instid0(VALU_DEP_1)
	v_add_nc_u32_e32 v9, 0x14000000, v9
; %bb.5060:                             ;   in Loop: Header=BB1_2 Depth=1
	s_or_b32 exec_lo, exec_lo, s94
.LBB1_5061:                             ;   in Loop: Header=BB1_2 Depth=1
	s_and_not1_saveexec_b32 s93, s93
; %bb.5062:                             ;   in Loop: Header=BB1_2 Depth=1
	s_delay_alu instid0(VALU_DEP_1)
	v_add_nc_u32_e32 v9, 0x18000000, v9
; %bb.5063:                             ;   in Loop: Header=BB1_2 Depth=1
	s_or_b32 exec_lo, exec_lo, s93
.LBB1_5064:                             ;   in Loop: Header=BB1_2 Depth=1
	s_and_not1_saveexec_b32 s92, s92
; %bb.5065:                             ;   in Loop: Header=BB1_2 Depth=1
	s_delay_alu instid0(VALU_DEP_1)
	v_add_nc_u32_e32 v9, 0x1c000000, v9
; %bb.5066:                             ;   in Loop: Header=BB1_2 Depth=1
	s_or_b32 exec_lo, exec_lo, s92
.LBB1_5067:                             ;   in Loop: Header=BB1_2 Depth=1
	s_and_not1_saveexec_b32 s91, s91
; %bb.5068:                             ;   in Loop: Header=BB1_2 Depth=1
	s_delay_alu instid0(VALU_DEP_1)
	v_add_nc_u32_e32 v9, 0x20000000, v9
; %bb.5069:                             ;   in Loop: Header=BB1_2 Depth=1
	s_or_b32 exec_lo, exec_lo, s91
.LBB1_5070:                             ;   in Loop: Header=BB1_2 Depth=1
	s_and_not1_saveexec_b32 s90, s90
; %bb.5071:                             ;   in Loop: Header=BB1_2 Depth=1
	s_delay_alu instid0(VALU_DEP_1)
	v_add_nc_u32_e32 v9, 0x24000000, v9
; %bb.5072:                             ;   in Loop: Header=BB1_2 Depth=1
	s_or_b32 exec_lo, exec_lo, s90
.LBB1_5073:                             ;   in Loop: Header=BB1_2 Depth=1
	s_and_not1_saveexec_b32 s89, s89
; %bb.5074:                             ;   in Loop: Header=BB1_2 Depth=1
	s_delay_alu instid0(VALU_DEP_1)
	v_add_nc_u32_e32 v9, 0x28000000, v9
; %bb.5075:                             ;   in Loop: Header=BB1_2 Depth=1
	s_or_b32 exec_lo, exec_lo, s89
.LBB1_5076:                             ;   in Loop: Header=BB1_2 Depth=1
	s_and_not1_saveexec_b32 s88, s88
; %bb.5077:                             ;   in Loop: Header=BB1_2 Depth=1
	s_delay_alu instid0(VALU_DEP_1)
	v_add_nc_u32_e32 v9, 0x2c000000, v9
; %bb.5078:                             ;   in Loop: Header=BB1_2 Depth=1
	s_or_b32 exec_lo, exec_lo, s88
.LBB1_5079:                             ;   in Loop: Header=BB1_2 Depth=1
	s_and_not1_saveexec_b32 s87, s87
; %bb.5080:                             ;   in Loop: Header=BB1_2 Depth=1
	s_delay_alu instid0(VALU_DEP_1)
	v_add_nc_u32_e32 v9, 0x30000000, v9
; %bb.5081:                             ;   in Loop: Header=BB1_2 Depth=1
	s_or_b32 exec_lo, exec_lo, s87
.LBB1_5082:                             ;   in Loop: Header=BB1_2 Depth=1
	s_and_not1_saveexec_b32 s86, s86
; %bb.5083:                             ;   in Loop: Header=BB1_2 Depth=1
	s_delay_alu instid0(VALU_DEP_1)
	v_add_nc_u32_e32 v9, 0x34000000, v9
; %bb.5084:                             ;   in Loop: Header=BB1_2 Depth=1
	s_or_b32 exec_lo, exec_lo, s86
.LBB1_5085:                             ;   in Loop: Header=BB1_2 Depth=1
	s_and_not1_saveexec_b32 s85, s85
; %bb.5086:                             ;   in Loop: Header=BB1_2 Depth=1
	s_delay_alu instid0(VALU_DEP_1)
	v_add_nc_u32_e32 v9, 0x38000000, v9
; %bb.5087:                             ;   in Loop: Header=BB1_2 Depth=1
	s_or_b32 exec_lo, exec_lo, s85
.LBB1_5088:                             ;   in Loop: Header=BB1_2 Depth=1
	s_and_not1_saveexec_b32 s84, s84
; %bb.5089:                             ;   in Loop: Header=BB1_2 Depth=1
	s_delay_alu instid0(VALU_DEP_1)
	v_add_nc_u32_e32 v9, 0x3c000000, v9
; %bb.5090:                             ;   in Loop: Header=BB1_2 Depth=1
	s_or_b32 exec_lo, exec_lo, s84
.LBB1_5091:                             ;   in Loop: Header=BB1_2 Depth=1
	s_and_not1_saveexec_b32 s83, s83
; %bb.5092:                             ;   in Loop: Header=BB1_2 Depth=1
	s_delay_alu instid0(VALU_DEP_1)
	v_add_nc_u32_e32 v9, 2.0, v9
; %bb.5093:                             ;   in Loop: Header=BB1_2 Depth=1
	s_or_b32 exec_lo, exec_lo, s83
.LBB1_5094:                             ;   in Loop: Header=BB1_2 Depth=1
	s_and_not1_saveexec_b32 s82, s82
; %bb.5095:                             ;   in Loop: Header=BB1_2 Depth=1
	s_delay_alu instid0(VALU_DEP_1)
	v_add_nc_u32_e32 v9, 0x44000000, v9
; %bb.5096:                             ;   in Loop: Header=BB1_2 Depth=1
	s_or_b32 exec_lo, exec_lo, s82
.LBB1_5097:                             ;   in Loop: Header=BB1_2 Depth=1
	s_and_not1_saveexec_b32 s81, s81
; %bb.5098:                             ;   in Loop: Header=BB1_2 Depth=1
	s_delay_alu instid0(VALU_DEP_1)
	v_add_nc_u32_e32 v9, 0x48000000, v9
; %bb.5099:                             ;   in Loop: Header=BB1_2 Depth=1
	s_or_b32 exec_lo, exec_lo, s81
.LBB1_5100:                             ;   in Loop: Header=BB1_2 Depth=1
	s_and_not1_saveexec_b32 s80, s80
; %bb.5101:                             ;   in Loop: Header=BB1_2 Depth=1
	s_delay_alu instid0(VALU_DEP_1)
	v_add_nc_u32_e32 v9, 0x4c000000, v9
; %bb.5102:                             ;   in Loop: Header=BB1_2 Depth=1
	s_or_b32 exec_lo, exec_lo, s80
.LBB1_5103:                             ;   in Loop: Header=BB1_2 Depth=1
	s_and_not1_saveexec_b32 s79, s79
; %bb.5104:                             ;   in Loop: Header=BB1_2 Depth=1
	s_delay_alu instid0(VALU_DEP_1)
	v_add_nc_u32_e32 v9, 0x50000000, v9
; %bb.5105:                             ;   in Loop: Header=BB1_2 Depth=1
	s_or_b32 exec_lo, exec_lo, s79
.LBB1_5106:                             ;   in Loop: Header=BB1_2 Depth=1
	s_and_not1_saveexec_b32 s78, s78
; %bb.5107:                             ;   in Loop: Header=BB1_2 Depth=1
	s_delay_alu instid0(VALU_DEP_1)
	v_add_nc_u32_e32 v9, 0x54000000, v9
; %bb.5108:                             ;   in Loop: Header=BB1_2 Depth=1
	s_or_b32 exec_lo, exec_lo, s78
.LBB1_5109:                             ;   in Loop: Header=BB1_2 Depth=1
	s_and_not1_saveexec_b32 s77, s77
; %bb.5110:                             ;   in Loop: Header=BB1_2 Depth=1
	s_delay_alu instid0(VALU_DEP_1)
	v_add_nc_u32_e32 v9, 0x58000000, v9
; %bb.5111:                             ;   in Loop: Header=BB1_2 Depth=1
	s_or_b32 exec_lo, exec_lo, s77
.LBB1_5112:                             ;   in Loop: Header=BB1_2 Depth=1
	s_and_not1_saveexec_b32 s76, s76
; %bb.5113:                             ;   in Loop: Header=BB1_2 Depth=1
	s_delay_alu instid0(VALU_DEP_1)
	v_add_nc_u32_e32 v9, 0x5c000000, v9
; %bb.5114:                             ;   in Loop: Header=BB1_2 Depth=1
	s_or_b32 exec_lo, exec_lo, s76
.LBB1_5115:                             ;   in Loop: Header=BB1_2 Depth=1
	s_and_not1_saveexec_b32 s75, s75
; %bb.5116:                             ;   in Loop: Header=BB1_2 Depth=1
	s_delay_alu instid0(VALU_DEP_1)
	v_add_nc_u32_e32 v9, 0x60000000, v9
; %bb.5117:                             ;   in Loop: Header=BB1_2 Depth=1
	s_or_b32 exec_lo, exec_lo, s75
.LBB1_5118:                             ;   in Loop: Header=BB1_2 Depth=1
	s_and_not1_saveexec_b32 s74, s74
; %bb.5119:                             ;   in Loop: Header=BB1_2 Depth=1
	s_delay_alu instid0(VALU_DEP_1)
	v_add_nc_u32_e32 v9, 0x64000000, v9
; %bb.5120:                             ;   in Loop: Header=BB1_2 Depth=1
	s_or_b32 exec_lo, exec_lo, s74
.LBB1_5121:                             ;   in Loop: Header=BB1_2 Depth=1
	s_and_not1_saveexec_b32 s73, s73
; %bb.5122:                             ;   in Loop: Header=BB1_2 Depth=1
	s_delay_alu instid0(VALU_DEP_1)
	v_add_nc_u32_e32 v9, 0x68000000, v9
; %bb.5123:                             ;   in Loop: Header=BB1_2 Depth=1
	s_or_b32 exec_lo, exec_lo, s73
.LBB1_5124:                             ;   in Loop: Header=BB1_2 Depth=1
	s_and_not1_saveexec_b32 s72, s72
; %bb.5125:                             ;   in Loop: Header=BB1_2 Depth=1
	s_delay_alu instid0(VALU_DEP_1)
	v_add_nc_u32_e32 v9, 0x6c000000, v9
; %bb.5126:                             ;   in Loop: Header=BB1_2 Depth=1
	s_or_b32 exec_lo, exec_lo, s72
.LBB1_5127:                             ;   in Loop: Header=BB1_2 Depth=1
	s_and_not1_saveexec_b32 s35, s35
; %bb.5128:                             ;   in Loop: Header=BB1_2 Depth=1
	s_delay_alu instid0(VALU_DEP_1)
	v_add_nc_u32_e32 v9, 0x70000000, v9
; %bb.5129:                             ;   in Loop: Header=BB1_2 Depth=1
	s_or_b32 exec_lo, exec_lo, s35
.LBB1_5130:                             ;   in Loop: Header=BB1_2 Depth=1
	s_and_not1_saveexec_b32 s34, s34
; %bb.5131:                             ;   in Loop: Header=BB1_2 Depth=1
	s_delay_alu instid0(VALU_DEP_1)
	v_add_nc_u32_e32 v9, 0x74000000, v9
; %bb.5132:                             ;   in Loop: Header=BB1_2 Depth=1
	s_or_b32 exec_lo, exec_lo, s34
.LBB1_5133:                             ;   in Loop: Header=BB1_2 Depth=1
	s_and_not1_saveexec_b32 s33, s33
; %bb.5134:                             ;   in Loop: Header=BB1_2 Depth=1
	s_delay_alu instid0(VALU_DEP_1)
	v_add_nc_u32_e32 v9, 0x78000000, v9
; %bb.5135:                             ;   in Loop: Header=BB1_2 Depth=1
	s_or_b32 exec_lo, exec_lo, s33
.LBB1_5136:                             ;   in Loop: Header=BB1_2 Depth=1
	s_and_not1_saveexec_b32 s31, s31
; %bb.5137:                             ;   in Loop: Header=BB1_2 Depth=1
	s_delay_alu instid0(VALU_DEP_1)
	v_add_nc_u32_e32 v9, 0x7c000000, v9
; %bb.5138:                             ;   in Loop: Header=BB1_2 Depth=1
	s_or_b32 exec_lo, exec_lo, s31
	v_mov_b32_e32 v0, s1
	s_mov_b32 s31, exec_lo
	ds_load_2addr_b64 v[10:13], v0 offset0:144 offset1:145
	ds_load_b64 v[14:15], v0 offset:1168
	s_wait_dscnt 0x1
	v_mul_f64_e32 v[0:1], v[4:5], v[12:13]
	s_delay_alu instid0(VALU_DEP_1)
	v_fmac_f64_e32 v[0:1], v[2:3], v[10:11]
	v_add3_u32 v11, v8, s30, 0x2c000
	v_mov_b32_e32 v10, 0x7c
	global_store_b32 v11, v9, s[2:3] scale_offset
	s_wait_dscnt 0x0
	v_fmac_f64_e32 v[0:1], v[6:7], v[14:15]
	s_wait_xcnt 0x0
	s_delay_alu instid0(VALU_DEP_1)
	v_cmpx_ngt_f64_e32 s[28:29], v[0:1]
	s_cbranch_execz .LBB1_5200
; %bb.5139:                             ;   in Loop: Header=BB1_2 Depth=1
	v_mov_b32_e32 v10, 0x78
	s_mov_b32 s33, exec_lo
	v_cmpx_ngt_f64_e32 s[70:71], v[0:1]
	s_cbranch_execz .LBB1_5199
; %bb.5140:                             ;   in Loop: Header=BB1_2 Depth=1
	v_mov_b32_e32 v10, 0x74
	s_mov_b32 s34, exec_lo
	;; [unrolled: 5-line block ×30, first 2 shown]
	v_cmpx_gt_f64_e32 s[52:53], v[0:1]
; %bb.5169:                             ;   in Loop: Header=BB1_2 Depth=1
	v_mov_b32_e32 v10, 4
; %bb.5170:                             ;   in Loop: Header=BB1_2 Depth=1
	s_or_b32 exec_lo, exec_lo, s98
.LBB1_5171:                             ;   in Loop: Header=BB1_2 Depth=1
	s_delay_alu instid0(SALU_CYCLE_1)
	s_or_b32 exec_lo, exec_lo, s97
.LBB1_5172:                             ;   in Loop: Header=BB1_2 Depth=1
	s_delay_alu instid0(SALU_CYCLE_1)
	s_or_b32 exec_lo, exec_lo, s96
.LBB1_5173:                             ;   in Loop: Header=BB1_2 Depth=1
	s_delay_alu instid0(SALU_CYCLE_1)
	s_or_b32 exec_lo, exec_lo, s95
.LBB1_5174:                             ;   in Loop: Header=BB1_2 Depth=1
	s_delay_alu instid0(SALU_CYCLE_1)
	s_or_b32 exec_lo, exec_lo, s94
.LBB1_5175:                             ;   in Loop: Header=BB1_2 Depth=1
	s_delay_alu instid0(SALU_CYCLE_1)
	s_or_b32 exec_lo, exec_lo, s93
.LBB1_5176:                             ;   in Loop: Header=BB1_2 Depth=1
	s_delay_alu instid0(SALU_CYCLE_1)
	s_or_b32 exec_lo, exec_lo, s92
.LBB1_5177:                             ;   in Loop: Header=BB1_2 Depth=1
	s_delay_alu instid0(SALU_CYCLE_1)
	s_or_b32 exec_lo, exec_lo, s91
.LBB1_5178:                             ;   in Loop: Header=BB1_2 Depth=1
	s_delay_alu instid0(SALU_CYCLE_1)
	s_or_b32 exec_lo, exec_lo, s90
.LBB1_5179:                             ;   in Loop: Header=BB1_2 Depth=1
	s_delay_alu instid0(SALU_CYCLE_1)
	s_or_b32 exec_lo, exec_lo, s89
.LBB1_5180:                             ;   in Loop: Header=BB1_2 Depth=1
	s_delay_alu instid0(SALU_CYCLE_1)
	s_or_b32 exec_lo, exec_lo, s88
.LBB1_5181:                             ;   in Loop: Header=BB1_2 Depth=1
	s_delay_alu instid0(SALU_CYCLE_1)
	s_or_b32 exec_lo, exec_lo, s87
.LBB1_5182:                             ;   in Loop: Header=BB1_2 Depth=1
	s_delay_alu instid0(SALU_CYCLE_1)
	s_or_b32 exec_lo, exec_lo, s86
.LBB1_5183:                             ;   in Loop: Header=BB1_2 Depth=1
	s_delay_alu instid0(SALU_CYCLE_1)
	s_or_b32 exec_lo, exec_lo, s85
.LBB1_5184:                             ;   in Loop: Header=BB1_2 Depth=1
	s_delay_alu instid0(SALU_CYCLE_1)
	s_or_b32 exec_lo, exec_lo, s84
.LBB1_5185:                             ;   in Loop: Header=BB1_2 Depth=1
	s_delay_alu instid0(SALU_CYCLE_1)
	s_or_b32 exec_lo, exec_lo, s83
.LBB1_5186:                             ;   in Loop: Header=BB1_2 Depth=1
	s_delay_alu instid0(SALU_CYCLE_1)
	s_or_b32 exec_lo, exec_lo, s82
.LBB1_5187:                             ;   in Loop: Header=BB1_2 Depth=1
	s_delay_alu instid0(SALU_CYCLE_1)
	s_or_b32 exec_lo, exec_lo, s81
.LBB1_5188:                             ;   in Loop: Header=BB1_2 Depth=1
	s_delay_alu instid0(SALU_CYCLE_1)
	s_or_b32 exec_lo, exec_lo, s80
.LBB1_5189:                             ;   in Loop: Header=BB1_2 Depth=1
	s_delay_alu instid0(SALU_CYCLE_1)
	s_or_b32 exec_lo, exec_lo, s79
.LBB1_5190:                             ;   in Loop: Header=BB1_2 Depth=1
	s_delay_alu instid0(SALU_CYCLE_1)
	s_or_b32 exec_lo, exec_lo, s78
.LBB1_5191:                             ;   in Loop: Header=BB1_2 Depth=1
	s_delay_alu instid0(SALU_CYCLE_1)
	s_or_b32 exec_lo, exec_lo, s77
.LBB1_5192:                             ;   in Loop: Header=BB1_2 Depth=1
	s_delay_alu instid0(SALU_CYCLE_1)
	s_or_b32 exec_lo, exec_lo, s76
.LBB1_5193:                             ;   in Loop: Header=BB1_2 Depth=1
	s_delay_alu instid0(SALU_CYCLE_1)
	s_or_b32 exec_lo, exec_lo, s75
.LBB1_5194:                             ;   in Loop: Header=BB1_2 Depth=1
	s_delay_alu instid0(SALU_CYCLE_1)
	s_or_b32 exec_lo, exec_lo, s74
.LBB1_5195:                             ;   in Loop: Header=BB1_2 Depth=1
	s_delay_alu instid0(SALU_CYCLE_1)
	s_or_b32 exec_lo, exec_lo, s73
.LBB1_5196:                             ;   in Loop: Header=BB1_2 Depth=1
	s_delay_alu instid0(SALU_CYCLE_1)
	s_or_b32 exec_lo, exec_lo, s72
.LBB1_5197:                             ;   in Loop: Header=BB1_2 Depth=1
	s_delay_alu instid0(SALU_CYCLE_1)
	s_or_b32 exec_lo, exec_lo, s35
.LBB1_5198:                             ;   in Loop: Header=BB1_2 Depth=1
	s_delay_alu instid0(SALU_CYCLE_1)
	s_or_b32 exec_lo, exec_lo, s34
.LBB1_5199:                             ;   in Loop: Header=BB1_2 Depth=1
	s_delay_alu instid0(SALU_CYCLE_1)
	s_or_b32 exec_lo, exec_lo, s33
.LBB1_5200:                             ;   in Loop: Header=BB1_2 Depth=1
	s_delay_alu instid0(SALU_CYCLE_1)
	s_or_b32 exec_lo, exec_lo, s31
	v_mov_b32_e32 v0, s1
	s_mov_b32 s31, exec_lo
	ds_load_2addr_b64 v[12:15], v0 offset0:147 offset1:148
	ds_load_b64 v[16:17], v0 offset:1192
	s_wait_dscnt 0x1
	v_mul_f64_e32 v[0:1], v[4:5], v[14:15]
	s_delay_alu instid0(VALU_DEP_1) | instskip(SKIP_1) | instid1(VALU_DEP_1)
	v_fmac_f64_e32 v[0:1], v[2:3], v[12:13]
	s_wait_dscnt 0x0
	v_fmac_f64_e32 v[0:1], v[6:7], v[16:17]
	s_delay_alu instid0(VALU_DEP_1)
	v_cmpx_ngt_f64_e32 s[28:29], v[0:1]
	s_xor_b32 s31, exec_lo, s31
	s_cbranch_execz .LBB1_5320
; %bb.5201:                             ;   in Loop: Header=BB1_2 Depth=1
	s_mov_b32 s33, exec_lo
	v_cmpx_ngt_f64_e32 s[70:71], v[0:1]
	s_xor_b32 s33, exec_lo, s33
	s_cbranch_execz .LBB1_5317
; %bb.5202:                             ;   in Loop: Header=BB1_2 Depth=1
	s_mov_b32 s34, exec_lo
	;; [unrolled: 5-line block ×30, first 2 shown]
	v_cmpx_gt_f64_e32 s[52:53], v[0:1]
; %bb.5231:                             ;   in Loop: Header=BB1_2 Depth=1
	v_or_b32_e32 v10, 0x400, v10
; %bb.5232:                             ;   in Loop: Header=BB1_2 Depth=1
	s_or_b32 exec_lo, exec_lo, s98
.LBB1_5233:                             ;   in Loop: Header=BB1_2 Depth=1
	s_and_not1_saveexec_b32 s97, s97
; %bb.5234:                             ;   in Loop: Header=BB1_2 Depth=1
	s_delay_alu instid0(VALU_DEP_1)
	v_or_b32_e32 v10, 0x800, v10
; %bb.5235:                             ;   in Loop: Header=BB1_2 Depth=1
	s_or_b32 exec_lo, exec_lo, s97
.LBB1_5236:                             ;   in Loop: Header=BB1_2 Depth=1
	s_and_not1_saveexec_b32 s96, s96
; %bb.5237:                             ;   in Loop: Header=BB1_2 Depth=1
	s_delay_alu instid0(VALU_DEP_1)
	v_or_b32_e32 v10, 0xc00, v10
; %bb.5238:                             ;   in Loop: Header=BB1_2 Depth=1
	s_or_b32 exec_lo, exec_lo, s96
.LBB1_5239:                             ;   in Loop: Header=BB1_2 Depth=1
	s_and_not1_saveexec_b32 s95, s95
; %bb.5240:                             ;   in Loop: Header=BB1_2 Depth=1
	s_delay_alu instid0(VALU_DEP_1)
	v_or_b32_e32 v10, 0x1000, v10
; %bb.5241:                             ;   in Loop: Header=BB1_2 Depth=1
	s_or_b32 exec_lo, exec_lo, s95
.LBB1_5242:                             ;   in Loop: Header=BB1_2 Depth=1
	s_and_not1_saveexec_b32 s94, s94
; %bb.5243:                             ;   in Loop: Header=BB1_2 Depth=1
	s_delay_alu instid0(VALU_DEP_1)
	v_or_b32_e32 v10, 0x1400, v10
; %bb.5244:                             ;   in Loop: Header=BB1_2 Depth=1
	s_or_b32 exec_lo, exec_lo, s94
.LBB1_5245:                             ;   in Loop: Header=BB1_2 Depth=1
	s_and_not1_saveexec_b32 s93, s93
; %bb.5246:                             ;   in Loop: Header=BB1_2 Depth=1
	s_delay_alu instid0(VALU_DEP_1)
	v_or_b32_e32 v10, 0x1800, v10
; %bb.5247:                             ;   in Loop: Header=BB1_2 Depth=1
	s_or_b32 exec_lo, exec_lo, s93
.LBB1_5248:                             ;   in Loop: Header=BB1_2 Depth=1
	s_and_not1_saveexec_b32 s92, s92
; %bb.5249:                             ;   in Loop: Header=BB1_2 Depth=1
	s_delay_alu instid0(VALU_DEP_1)
	v_or_b32_e32 v10, 0x1c00, v10
; %bb.5250:                             ;   in Loop: Header=BB1_2 Depth=1
	s_or_b32 exec_lo, exec_lo, s92
.LBB1_5251:                             ;   in Loop: Header=BB1_2 Depth=1
	s_and_not1_saveexec_b32 s91, s91
; %bb.5252:                             ;   in Loop: Header=BB1_2 Depth=1
	s_delay_alu instid0(VALU_DEP_1)
	v_or_b32_e32 v10, 0x2000, v10
; %bb.5253:                             ;   in Loop: Header=BB1_2 Depth=1
	s_or_b32 exec_lo, exec_lo, s91
.LBB1_5254:                             ;   in Loop: Header=BB1_2 Depth=1
	s_and_not1_saveexec_b32 s90, s90
; %bb.5255:                             ;   in Loop: Header=BB1_2 Depth=1
	s_delay_alu instid0(VALU_DEP_1)
	v_or_b32_e32 v10, 0x2400, v10
; %bb.5256:                             ;   in Loop: Header=BB1_2 Depth=1
	s_or_b32 exec_lo, exec_lo, s90
.LBB1_5257:                             ;   in Loop: Header=BB1_2 Depth=1
	s_and_not1_saveexec_b32 s89, s89
; %bb.5258:                             ;   in Loop: Header=BB1_2 Depth=1
	s_delay_alu instid0(VALU_DEP_1)
	v_or_b32_e32 v10, 0x2800, v10
; %bb.5259:                             ;   in Loop: Header=BB1_2 Depth=1
	s_or_b32 exec_lo, exec_lo, s89
.LBB1_5260:                             ;   in Loop: Header=BB1_2 Depth=1
	s_and_not1_saveexec_b32 s88, s88
; %bb.5261:                             ;   in Loop: Header=BB1_2 Depth=1
	s_delay_alu instid0(VALU_DEP_1)
	v_or_b32_e32 v10, 0x2c00, v10
; %bb.5262:                             ;   in Loop: Header=BB1_2 Depth=1
	s_or_b32 exec_lo, exec_lo, s88
.LBB1_5263:                             ;   in Loop: Header=BB1_2 Depth=1
	s_and_not1_saveexec_b32 s87, s87
; %bb.5264:                             ;   in Loop: Header=BB1_2 Depth=1
	s_delay_alu instid0(VALU_DEP_1)
	v_or_b32_e32 v10, 0x3000, v10
; %bb.5265:                             ;   in Loop: Header=BB1_2 Depth=1
	s_or_b32 exec_lo, exec_lo, s87
.LBB1_5266:                             ;   in Loop: Header=BB1_2 Depth=1
	s_and_not1_saveexec_b32 s86, s86
; %bb.5267:                             ;   in Loop: Header=BB1_2 Depth=1
	s_delay_alu instid0(VALU_DEP_1)
	v_or_b32_e32 v10, 0x3400, v10
; %bb.5268:                             ;   in Loop: Header=BB1_2 Depth=1
	s_or_b32 exec_lo, exec_lo, s86
.LBB1_5269:                             ;   in Loop: Header=BB1_2 Depth=1
	s_and_not1_saveexec_b32 s85, s85
; %bb.5270:                             ;   in Loop: Header=BB1_2 Depth=1
	s_delay_alu instid0(VALU_DEP_1)
	v_or_b32_e32 v10, 0x3800, v10
; %bb.5271:                             ;   in Loop: Header=BB1_2 Depth=1
	s_or_b32 exec_lo, exec_lo, s85
.LBB1_5272:                             ;   in Loop: Header=BB1_2 Depth=1
	s_and_not1_saveexec_b32 s84, s84
; %bb.5273:                             ;   in Loop: Header=BB1_2 Depth=1
	s_delay_alu instid0(VALU_DEP_1)
	v_or_b32_e32 v10, 0x3c00, v10
; %bb.5274:                             ;   in Loop: Header=BB1_2 Depth=1
	s_or_b32 exec_lo, exec_lo, s84
.LBB1_5275:                             ;   in Loop: Header=BB1_2 Depth=1
	s_and_not1_saveexec_b32 s83, s83
; %bb.5276:                             ;   in Loop: Header=BB1_2 Depth=1
	s_delay_alu instid0(VALU_DEP_1)
	v_or_b32_e32 v10, 0x4000, v10
; %bb.5277:                             ;   in Loop: Header=BB1_2 Depth=1
	s_or_b32 exec_lo, exec_lo, s83
.LBB1_5278:                             ;   in Loop: Header=BB1_2 Depth=1
	s_and_not1_saveexec_b32 s82, s82
; %bb.5279:                             ;   in Loop: Header=BB1_2 Depth=1
	s_delay_alu instid0(VALU_DEP_1)
	v_or_b32_e32 v10, 0x4400, v10
; %bb.5280:                             ;   in Loop: Header=BB1_2 Depth=1
	s_or_b32 exec_lo, exec_lo, s82
.LBB1_5281:                             ;   in Loop: Header=BB1_2 Depth=1
	s_and_not1_saveexec_b32 s81, s81
; %bb.5282:                             ;   in Loop: Header=BB1_2 Depth=1
	s_delay_alu instid0(VALU_DEP_1)
	v_or_b32_e32 v10, 0x4800, v10
; %bb.5283:                             ;   in Loop: Header=BB1_2 Depth=1
	s_or_b32 exec_lo, exec_lo, s81
.LBB1_5284:                             ;   in Loop: Header=BB1_2 Depth=1
	s_and_not1_saveexec_b32 s80, s80
; %bb.5285:                             ;   in Loop: Header=BB1_2 Depth=1
	s_delay_alu instid0(VALU_DEP_1)
	v_or_b32_e32 v10, 0x4c00, v10
; %bb.5286:                             ;   in Loop: Header=BB1_2 Depth=1
	s_or_b32 exec_lo, exec_lo, s80
.LBB1_5287:                             ;   in Loop: Header=BB1_2 Depth=1
	s_and_not1_saveexec_b32 s79, s79
; %bb.5288:                             ;   in Loop: Header=BB1_2 Depth=1
	s_delay_alu instid0(VALU_DEP_1)
	v_or_b32_e32 v10, 0x5000, v10
; %bb.5289:                             ;   in Loop: Header=BB1_2 Depth=1
	s_or_b32 exec_lo, exec_lo, s79
.LBB1_5290:                             ;   in Loop: Header=BB1_2 Depth=1
	s_and_not1_saveexec_b32 s78, s78
; %bb.5291:                             ;   in Loop: Header=BB1_2 Depth=1
	s_delay_alu instid0(VALU_DEP_1)
	v_or_b32_e32 v10, 0x5400, v10
; %bb.5292:                             ;   in Loop: Header=BB1_2 Depth=1
	s_or_b32 exec_lo, exec_lo, s78
.LBB1_5293:                             ;   in Loop: Header=BB1_2 Depth=1
	s_and_not1_saveexec_b32 s77, s77
; %bb.5294:                             ;   in Loop: Header=BB1_2 Depth=1
	s_delay_alu instid0(VALU_DEP_1)
	v_or_b32_e32 v10, 0x5800, v10
; %bb.5295:                             ;   in Loop: Header=BB1_2 Depth=1
	s_or_b32 exec_lo, exec_lo, s77
.LBB1_5296:                             ;   in Loop: Header=BB1_2 Depth=1
	s_and_not1_saveexec_b32 s76, s76
; %bb.5297:                             ;   in Loop: Header=BB1_2 Depth=1
	s_delay_alu instid0(VALU_DEP_1)
	v_or_b32_e32 v10, 0x5c00, v10
; %bb.5298:                             ;   in Loop: Header=BB1_2 Depth=1
	s_or_b32 exec_lo, exec_lo, s76
.LBB1_5299:                             ;   in Loop: Header=BB1_2 Depth=1
	s_and_not1_saveexec_b32 s75, s75
; %bb.5300:                             ;   in Loop: Header=BB1_2 Depth=1
	s_delay_alu instid0(VALU_DEP_1)
	v_or_b32_e32 v10, 0x6000, v10
; %bb.5301:                             ;   in Loop: Header=BB1_2 Depth=1
	s_or_b32 exec_lo, exec_lo, s75
.LBB1_5302:                             ;   in Loop: Header=BB1_2 Depth=1
	s_and_not1_saveexec_b32 s74, s74
; %bb.5303:                             ;   in Loop: Header=BB1_2 Depth=1
	s_delay_alu instid0(VALU_DEP_1)
	v_or_b32_e32 v10, 0x6400, v10
; %bb.5304:                             ;   in Loop: Header=BB1_2 Depth=1
	s_or_b32 exec_lo, exec_lo, s74
.LBB1_5305:                             ;   in Loop: Header=BB1_2 Depth=1
	s_and_not1_saveexec_b32 s73, s73
; %bb.5306:                             ;   in Loop: Header=BB1_2 Depth=1
	s_delay_alu instid0(VALU_DEP_1)
	v_or_b32_e32 v10, 0x6800, v10
; %bb.5307:                             ;   in Loop: Header=BB1_2 Depth=1
	s_or_b32 exec_lo, exec_lo, s73
.LBB1_5308:                             ;   in Loop: Header=BB1_2 Depth=1
	s_and_not1_saveexec_b32 s72, s72
; %bb.5309:                             ;   in Loop: Header=BB1_2 Depth=1
	s_delay_alu instid0(VALU_DEP_1)
	v_or_b32_e32 v10, 0x6c00, v10
; %bb.5310:                             ;   in Loop: Header=BB1_2 Depth=1
	s_or_b32 exec_lo, exec_lo, s72
.LBB1_5311:                             ;   in Loop: Header=BB1_2 Depth=1
	s_and_not1_saveexec_b32 s35, s35
; %bb.5312:                             ;   in Loop: Header=BB1_2 Depth=1
	s_delay_alu instid0(VALU_DEP_1)
	v_or_b32_e32 v10, 0x7000, v10
; %bb.5313:                             ;   in Loop: Header=BB1_2 Depth=1
	s_or_b32 exec_lo, exec_lo, s35
.LBB1_5314:                             ;   in Loop: Header=BB1_2 Depth=1
	s_and_not1_saveexec_b32 s34, s34
; %bb.5315:                             ;   in Loop: Header=BB1_2 Depth=1
	s_delay_alu instid0(VALU_DEP_1)
	v_or_b32_e32 v10, 0x7400, v10
; %bb.5316:                             ;   in Loop: Header=BB1_2 Depth=1
	s_or_b32 exec_lo, exec_lo, s34
.LBB1_5317:                             ;   in Loop: Header=BB1_2 Depth=1
	s_and_not1_saveexec_b32 s33, s33
; %bb.5318:                             ;   in Loop: Header=BB1_2 Depth=1
	s_delay_alu instid0(VALU_DEP_1)
	v_or_b32_e32 v10, 0x7800, v10
; %bb.5319:                             ;   in Loop: Header=BB1_2 Depth=1
	s_or_b32 exec_lo, exec_lo, s33
.LBB1_5320:                             ;   in Loop: Header=BB1_2 Depth=1
	s_and_not1_saveexec_b32 s31, s31
; %bb.5321:                             ;   in Loop: Header=BB1_2 Depth=1
	s_delay_alu instid0(VALU_DEP_1)
	v_or_b32_e32 v10, 0x7c00, v10
; %bb.5322:                             ;   in Loop: Header=BB1_2 Depth=1
	s_or_b32 exec_lo, exec_lo, s31
	v_mov_b32_e32 v0, s1
	s_mov_b32 s31, exec_lo
	ds_load_2addr_b64 v[12:15], v0 offset0:150 offset1:151
	ds_load_b64 v[16:17], v0 offset:1216
	s_wait_dscnt 0x1
	v_mul_f64_e32 v[0:1], v[4:5], v[14:15]
	s_delay_alu instid0(VALU_DEP_1) | instskip(SKIP_1) | instid1(VALU_DEP_1)
	v_fmac_f64_e32 v[0:1], v[2:3], v[12:13]
	s_wait_dscnt 0x0
	v_fmac_f64_e32 v[0:1], v[6:7], v[16:17]
	s_delay_alu instid0(VALU_DEP_1)
	v_cmpx_ngt_f64_e32 s[28:29], v[0:1]
	s_xor_b32 s31, exec_lo, s31
	s_cbranch_execz .LBB1_5442
; %bb.5323:                             ;   in Loop: Header=BB1_2 Depth=1
	s_mov_b32 s33, exec_lo
	v_cmpx_ngt_f64_e32 s[70:71], v[0:1]
	s_xor_b32 s33, exec_lo, s33
	s_cbranch_execz .LBB1_5439
; %bb.5324:                             ;   in Loop: Header=BB1_2 Depth=1
	s_mov_b32 s34, exec_lo
	;; [unrolled: 5-line block ×30, first 2 shown]
	v_cmpx_gt_f64_e32 s[52:53], v[0:1]
; %bb.5353:                             ;   in Loop: Header=BB1_2 Depth=1
	v_add_nc_u32_e32 v10, 0x40000, v10
; %bb.5354:                             ;   in Loop: Header=BB1_2 Depth=1
	s_or_b32 exec_lo, exec_lo, s98
.LBB1_5355:                             ;   in Loop: Header=BB1_2 Depth=1
	s_and_not1_saveexec_b32 s97, s97
; %bb.5356:                             ;   in Loop: Header=BB1_2 Depth=1
	s_delay_alu instid0(VALU_DEP_1)
	v_add_nc_u32_e32 v10, 0x80000, v10
; %bb.5357:                             ;   in Loop: Header=BB1_2 Depth=1
	s_or_b32 exec_lo, exec_lo, s97
.LBB1_5358:                             ;   in Loop: Header=BB1_2 Depth=1
	s_and_not1_saveexec_b32 s96, s96
; %bb.5359:                             ;   in Loop: Header=BB1_2 Depth=1
	s_delay_alu instid0(VALU_DEP_1)
	v_add_nc_u32_e32 v10, 0xc0000, v10
; %bb.5360:                             ;   in Loop: Header=BB1_2 Depth=1
	s_or_b32 exec_lo, exec_lo, s96
.LBB1_5361:                             ;   in Loop: Header=BB1_2 Depth=1
	s_and_not1_saveexec_b32 s95, s95
; %bb.5362:                             ;   in Loop: Header=BB1_2 Depth=1
	s_delay_alu instid0(VALU_DEP_1)
	v_add_nc_u32_e32 v10, 0x100000, v10
; %bb.5363:                             ;   in Loop: Header=BB1_2 Depth=1
	s_or_b32 exec_lo, exec_lo, s95
.LBB1_5364:                             ;   in Loop: Header=BB1_2 Depth=1
	s_and_not1_saveexec_b32 s94, s94
; %bb.5365:                             ;   in Loop: Header=BB1_2 Depth=1
	s_delay_alu instid0(VALU_DEP_1)
	v_add_nc_u32_e32 v10, 0x140000, v10
; %bb.5366:                             ;   in Loop: Header=BB1_2 Depth=1
	s_or_b32 exec_lo, exec_lo, s94
.LBB1_5367:                             ;   in Loop: Header=BB1_2 Depth=1
	s_and_not1_saveexec_b32 s93, s93
; %bb.5368:                             ;   in Loop: Header=BB1_2 Depth=1
	s_delay_alu instid0(VALU_DEP_1)
	v_add_nc_u32_e32 v10, 0x180000, v10
; %bb.5369:                             ;   in Loop: Header=BB1_2 Depth=1
	s_or_b32 exec_lo, exec_lo, s93
.LBB1_5370:                             ;   in Loop: Header=BB1_2 Depth=1
	s_and_not1_saveexec_b32 s92, s92
; %bb.5371:                             ;   in Loop: Header=BB1_2 Depth=1
	s_delay_alu instid0(VALU_DEP_1)
	v_add_nc_u32_e32 v10, 0x1c0000, v10
; %bb.5372:                             ;   in Loop: Header=BB1_2 Depth=1
	s_or_b32 exec_lo, exec_lo, s92
.LBB1_5373:                             ;   in Loop: Header=BB1_2 Depth=1
	s_and_not1_saveexec_b32 s91, s91
; %bb.5374:                             ;   in Loop: Header=BB1_2 Depth=1
	s_delay_alu instid0(VALU_DEP_1)
	v_add_nc_u32_e32 v10, 0x200000, v10
; %bb.5375:                             ;   in Loop: Header=BB1_2 Depth=1
	s_or_b32 exec_lo, exec_lo, s91
.LBB1_5376:                             ;   in Loop: Header=BB1_2 Depth=1
	s_and_not1_saveexec_b32 s90, s90
; %bb.5377:                             ;   in Loop: Header=BB1_2 Depth=1
	s_delay_alu instid0(VALU_DEP_1)
	v_add_nc_u32_e32 v10, 0x240000, v10
; %bb.5378:                             ;   in Loop: Header=BB1_2 Depth=1
	s_or_b32 exec_lo, exec_lo, s90
.LBB1_5379:                             ;   in Loop: Header=BB1_2 Depth=1
	s_and_not1_saveexec_b32 s89, s89
; %bb.5380:                             ;   in Loop: Header=BB1_2 Depth=1
	s_delay_alu instid0(VALU_DEP_1)
	v_add_nc_u32_e32 v10, 0x280000, v10
; %bb.5381:                             ;   in Loop: Header=BB1_2 Depth=1
	s_or_b32 exec_lo, exec_lo, s89
.LBB1_5382:                             ;   in Loop: Header=BB1_2 Depth=1
	s_and_not1_saveexec_b32 s88, s88
; %bb.5383:                             ;   in Loop: Header=BB1_2 Depth=1
	s_delay_alu instid0(VALU_DEP_1)
	v_add_nc_u32_e32 v10, 0x2c0000, v10
; %bb.5384:                             ;   in Loop: Header=BB1_2 Depth=1
	s_or_b32 exec_lo, exec_lo, s88
.LBB1_5385:                             ;   in Loop: Header=BB1_2 Depth=1
	s_and_not1_saveexec_b32 s87, s87
; %bb.5386:                             ;   in Loop: Header=BB1_2 Depth=1
	s_delay_alu instid0(VALU_DEP_1)
	v_add_nc_u32_e32 v10, 0x300000, v10
; %bb.5387:                             ;   in Loop: Header=BB1_2 Depth=1
	s_or_b32 exec_lo, exec_lo, s87
.LBB1_5388:                             ;   in Loop: Header=BB1_2 Depth=1
	s_and_not1_saveexec_b32 s86, s86
; %bb.5389:                             ;   in Loop: Header=BB1_2 Depth=1
	s_delay_alu instid0(VALU_DEP_1)
	v_add_nc_u32_e32 v10, 0x340000, v10
; %bb.5390:                             ;   in Loop: Header=BB1_2 Depth=1
	s_or_b32 exec_lo, exec_lo, s86
.LBB1_5391:                             ;   in Loop: Header=BB1_2 Depth=1
	s_and_not1_saveexec_b32 s85, s85
; %bb.5392:                             ;   in Loop: Header=BB1_2 Depth=1
	s_delay_alu instid0(VALU_DEP_1)
	v_add_nc_u32_e32 v10, 0x380000, v10
; %bb.5393:                             ;   in Loop: Header=BB1_2 Depth=1
	s_or_b32 exec_lo, exec_lo, s85
.LBB1_5394:                             ;   in Loop: Header=BB1_2 Depth=1
	s_and_not1_saveexec_b32 s84, s84
; %bb.5395:                             ;   in Loop: Header=BB1_2 Depth=1
	s_delay_alu instid0(VALU_DEP_1)
	v_add_nc_u32_e32 v10, 0x3c0000, v10
; %bb.5396:                             ;   in Loop: Header=BB1_2 Depth=1
	s_or_b32 exec_lo, exec_lo, s84
.LBB1_5397:                             ;   in Loop: Header=BB1_2 Depth=1
	s_and_not1_saveexec_b32 s83, s83
; %bb.5398:                             ;   in Loop: Header=BB1_2 Depth=1
	s_delay_alu instid0(VALU_DEP_1)
	v_add_nc_u32_e32 v10, 0x400000, v10
; %bb.5399:                             ;   in Loop: Header=BB1_2 Depth=1
	s_or_b32 exec_lo, exec_lo, s83
.LBB1_5400:                             ;   in Loop: Header=BB1_2 Depth=1
	s_and_not1_saveexec_b32 s82, s82
; %bb.5401:                             ;   in Loop: Header=BB1_2 Depth=1
	s_delay_alu instid0(VALU_DEP_1)
	v_add_nc_u32_e32 v10, 0x440000, v10
; %bb.5402:                             ;   in Loop: Header=BB1_2 Depth=1
	s_or_b32 exec_lo, exec_lo, s82
.LBB1_5403:                             ;   in Loop: Header=BB1_2 Depth=1
	s_and_not1_saveexec_b32 s81, s81
; %bb.5404:                             ;   in Loop: Header=BB1_2 Depth=1
	s_delay_alu instid0(VALU_DEP_1)
	v_add_nc_u32_e32 v10, 0x480000, v10
; %bb.5405:                             ;   in Loop: Header=BB1_2 Depth=1
	s_or_b32 exec_lo, exec_lo, s81
.LBB1_5406:                             ;   in Loop: Header=BB1_2 Depth=1
	s_and_not1_saveexec_b32 s80, s80
; %bb.5407:                             ;   in Loop: Header=BB1_2 Depth=1
	s_delay_alu instid0(VALU_DEP_1)
	v_add_nc_u32_e32 v10, 0x4c0000, v10
; %bb.5408:                             ;   in Loop: Header=BB1_2 Depth=1
	s_or_b32 exec_lo, exec_lo, s80
.LBB1_5409:                             ;   in Loop: Header=BB1_2 Depth=1
	s_and_not1_saveexec_b32 s79, s79
; %bb.5410:                             ;   in Loop: Header=BB1_2 Depth=1
	s_delay_alu instid0(VALU_DEP_1)
	v_add_nc_u32_e32 v10, 0x500000, v10
; %bb.5411:                             ;   in Loop: Header=BB1_2 Depth=1
	s_or_b32 exec_lo, exec_lo, s79
.LBB1_5412:                             ;   in Loop: Header=BB1_2 Depth=1
	s_and_not1_saveexec_b32 s78, s78
; %bb.5413:                             ;   in Loop: Header=BB1_2 Depth=1
	s_delay_alu instid0(VALU_DEP_1)
	v_add_nc_u32_e32 v10, 0x540000, v10
; %bb.5414:                             ;   in Loop: Header=BB1_2 Depth=1
	s_or_b32 exec_lo, exec_lo, s78
.LBB1_5415:                             ;   in Loop: Header=BB1_2 Depth=1
	s_and_not1_saveexec_b32 s77, s77
; %bb.5416:                             ;   in Loop: Header=BB1_2 Depth=1
	s_delay_alu instid0(VALU_DEP_1)
	v_add_nc_u32_e32 v10, 0x580000, v10
; %bb.5417:                             ;   in Loop: Header=BB1_2 Depth=1
	s_or_b32 exec_lo, exec_lo, s77
.LBB1_5418:                             ;   in Loop: Header=BB1_2 Depth=1
	s_and_not1_saveexec_b32 s76, s76
; %bb.5419:                             ;   in Loop: Header=BB1_2 Depth=1
	s_delay_alu instid0(VALU_DEP_1)
	v_add_nc_u32_e32 v10, 0x5c0000, v10
; %bb.5420:                             ;   in Loop: Header=BB1_2 Depth=1
	s_or_b32 exec_lo, exec_lo, s76
.LBB1_5421:                             ;   in Loop: Header=BB1_2 Depth=1
	s_and_not1_saveexec_b32 s75, s75
; %bb.5422:                             ;   in Loop: Header=BB1_2 Depth=1
	s_delay_alu instid0(VALU_DEP_1)
	v_add_nc_u32_e32 v10, 0x600000, v10
; %bb.5423:                             ;   in Loop: Header=BB1_2 Depth=1
	s_or_b32 exec_lo, exec_lo, s75
.LBB1_5424:                             ;   in Loop: Header=BB1_2 Depth=1
	s_and_not1_saveexec_b32 s74, s74
; %bb.5425:                             ;   in Loop: Header=BB1_2 Depth=1
	s_delay_alu instid0(VALU_DEP_1)
	v_add_nc_u32_e32 v10, 0x640000, v10
; %bb.5426:                             ;   in Loop: Header=BB1_2 Depth=1
	s_or_b32 exec_lo, exec_lo, s74
.LBB1_5427:                             ;   in Loop: Header=BB1_2 Depth=1
	s_and_not1_saveexec_b32 s73, s73
; %bb.5428:                             ;   in Loop: Header=BB1_2 Depth=1
	s_delay_alu instid0(VALU_DEP_1)
	v_add_nc_u32_e32 v10, 0x680000, v10
; %bb.5429:                             ;   in Loop: Header=BB1_2 Depth=1
	s_or_b32 exec_lo, exec_lo, s73
.LBB1_5430:                             ;   in Loop: Header=BB1_2 Depth=1
	s_and_not1_saveexec_b32 s72, s72
; %bb.5431:                             ;   in Loop: Header=BB1_2 Depth=1
	s_delay_alu instid0(VALU_DEP_1)
	v_add_nc_u32_e32 v10, 0x6c0000, v10
; %bb.5432:                             ;   in Loop: Header=BB1_2 Depth=1
	s_or_b32 exec_lo, exec_lo, s72
.LBB1_5433:                             ;   in Loop: Header=BB1_2 Depth=1
	s_and_not1_saveexec_b32 s35, s35
; %bb.5434:                             ;   in Loop: Header=BB1_2 Depth=1
	s_delay_alu instid0(VALU_DEP_1)
	v_add_nc_u32_e32 v10, 0x700000, v10
; %bb.5435:                             ;   in Loop: Header=BB1_2 Depth=1
	s_or_b32 exec_lo, exec_lo, s35
.LBB1_5436:                             ;   in Loop: Header=BB1_2 Depth=1
	s_and_not1_saveexec_b32 s34, s34
; %bb.5437:                             ;   in Loop: Header=BB1_2 Depth=1
	s_delay_alu instid0(VALU_DEP_1)
	v_add_nc_u32_e32 v10, 0x740000, v10
; %bb.5438:                             ;   in Loop: Header=BB1_2 Depth=1
	s_or_b32 exec_lo, exec_lo, s34
.LBB1_5439:                             ;   in Loop: Header=BB1_2 Depth=1
	s_and_not1_saveexec_b32 s33, s33
; %bb.5440:                             ;   in Loop: Header=BB1_2 Depth=1
	s_delay_alu instid0(VALU_DEP_1)
	v_add_nc_u32_e32 v10, 0x780000, v10
; %bb.5441:                             ;   in Loop: Header=BB1_2 Depth=1
	s_or_b32 exec_lo, exec_lo, s33
.LBB1_5442:                             ;   in Loop: Header=BB1_2 Depth=1
	s_and_not1_saveexec_b32 s31, s31
; %bb.5443:                             ;   in Loop: Header=BB1_2 Depth=1
	s_delay_alu instid0(VALU_DEP_1)
	v_add_nc_u32_e32 v10, 0x7c0000, v10
; %bb.5444:                             ;   in Loop: Header=BB1_2 Depth=1
	s_or_b32 exec_lo, exec_lo, s31
	v_mov_b32_e32 v0, s1
	s_mov_b32 s31, exec_lo
	ds_load_2addr_b64 v[12:15], v0 offset0:153 offset1:154
	ds_load_b64 v[16:17], v0 offset:1240
	s_wait_dscnt 0x1
	v_mul_f64_e32 v[0:1], v[4:5], v[14:15]
	s_delay_alu instid0(VALU_DEP_1) | instskip(SKIP_1) | instid1(VALU_DEP_1)
	v_fmac_f64_e32 v[0:1], v[2:3], v[12:13]
	s_wait_dscnt 0x0
	v_fmac_f64_e32 v[0:1], v[6:7], v[16:17]
	s_delay_alu instid0(VALU_DEP_1)
	v_cmpx_ngt_f64_e32 s[28:29], v[0:1]
	s_xor_b32 s31, exec_lo, s31
	s_cbranch_execz .LBB1_5564
; %bb.5445:                             ;   in Loop: Header=BB1_2 Depth=1
	s_mov_b32 s33, exec_lo
	v_cmpx_ngt_f64_e32 s[70:71], v[0:1]
	s_xor_b32 s33, exec_lo, s33
	s_cbranch_execz .LBB1_5561
; %bb.5446:                             ;   in Loop: Header=BB1_2 Depth=1
	s_mov_b32 s34, exec_lo
	;; [unrolled: 5-line block ×30, first 2 shown]
	v_cmpx_gt_f64_e32 s[52:53], v[0:1]
; %bb.5475:                             ;   in Loop: Header=BB1_2 Depth=1
	v_add_nc_u32_e32 v10, 0x4000000, v10
; %bb.5476:                             ;   in Loop: Header=BB1_2 Depth=1
	s_or_b32 exec_lo, exec_lo, s98
.LBB1_5477:                             ;   in Loop: Header=BB1_2 Depth=1
	s_and_not1_saveexec_b32 s97, s97
; %bb.5478:                             ;   in Loop: Header=BB1_2 Depth=1
	s_delay_alu instid0(VALU_DEP_1)
	v_add_nc_u32_e32 v10, 0x8000000, v10
; %bb.5479:                             ;   in Loop: Header=BB1_2 Depth=1
	s_or_b32 exec_lo, exec_lo, s97
.LBB1_5480:                             ;   in Loop: Header=BB1_2 Depth=1
	s_and_not1_saveexec_b32 s96, s96
; %bb.5481:                             ;   in Loop: Header=BB1_2 Depth=1
	s_delay_alu instid0(VALU_DEP_1)
	v_add_nc_u32_e32 v10, 0xc000000, v10
; %bb.5482:                             ;   in Loop: Header=BB1_2 Depth=1
	s_or_b32 exec_lo, exec_lo, s96
.LBB1_5483:                             ;   in Loop: Header=BB1_2 Depth=1
	s_and_not1_saveexec_b32 s95, s95
; %bb.5484:                             ;   in Loop: Header=BB1_2 Depth=1
	s_delay_alu instid0(VALU_DEP_1)
	v_add_nc_u32_e32 v10, 0x10000000, v10
; %bb.5485:                             ;   in Loop: Header=BB1_2 Depth=1
	s_or_b32 exec_lo, exec_lo, s95
.LBB1_5486:                             ;   in Loop: Header=BB1_2 Depth=1
	s_and_not1_saveexec_b32 s94, s94
; %bb.5487:                             ;   in Loop: Header=BB1_2 Depth=1
	s_delay_alu instid0(VALU_DEP_1)
	v_add_nc_u32_e32 v10, 0x14000000, v10
; %bb.5488:                             ;   in Loop: Header=BB1_2 Depth=1
	s_or_b32 exec_lo, exec_lo, s94
.LBB1_5489:                             ;   in Loop: Header=BB1_2 Depth=1
	s_and_not1_saveexec_b32 s93, s93
; %bb.5490:                             ;   in Loop: Header=BB1_2 Depth=1
	s_delay_alu instid0(VALU_DEP_1)
	v_add_nc_u32_e32 v10, 0x18000000, v10
; %bb.5491:                             ;   in Loop: Header=BB1_2 Depth=1
	s_or_b32 exec_lo, exec_lo, s93
.LBB1_5492:                             ;   in Loop: Header=BB1_2 Depth=1
	s_and_not1_saveexec_b32 s92, s92
; %bb.5493:                             ;   in Loop: Header=BB1_2 Depth=1
	s_delay_alu instid0(VALU_DEP_1)
	v_add_nc_u32_e32 v10, 0x1c000000, v10
; %bb.5494:                             ;   in Loop: Header=BB1_2 Depth=1
	s_or_b32 exec_lo, exec_lo, s92
.LBB1_5495:                             ;   in Loop: Header=BB1_2 Depth=1
	s_and_not1_saveexec_b32 s91, s91
; %bb.5496:                             ;   in Loop: Header=BB1_2 Depth=1
	s_delay_alu instid0(VALU_DEP_1)
	v_add_nc_u32_e32 v10, 0x20000000, v10
; %bb.5497:                             ;   in Loop: Header=BB1_2 Depth=1
	s_or_b32 exec_lo, exec_lo, s91
.LBB1_5498:                             ;   in Loop: Header=BB1_2 Depth=1
	s_and_not1_saveexec_b32 s90, s90
; %bb.5499:                             ;   in Loop: Header=BB1_2 Depth=1
	s_delay_alu instid0(VALU_DEP_1)
	v_add_nc_u32_e32 v10, 0x24000000, v10
; %bb.5500:                             ;   in Loop: Header=BB1_2 Depth=1
	s_or_b32 exec_lo, exec_lo, s90
.LBB1_5501:                             ;   in Loop: Header=BB1_2 Depth=1
	s_and_not1_saveexec_b32 s89, s89
; %bb.5502:                             ;   in Loop: Header=BB1_2 Depth=1
	s_delay_alu instid0(VALU_DEP_1)
	v_add_nc_u32_e32 v10, 0x28000000, v10
; %bb.5503:                             ;   in Loop: Header=BB1_2 Depth=1
	s_or_b32 exec_lo, exec_lo, s89
.LBB1_5504:                             ;   in Loop: Header=BB1_2 Depth=1
	s_and_not1_saveexec_b32 s88, s88
; %bb.5505:                             ;   in Loop: Header=BB1_2 Depth=1
	s_delay_alu instid0(VALU_DEP_1)
	v_add_nc_u32_e32 v10, 0x2c000000, v10
; %bb.5506:                             ;   in Loop: Header=BB1_2 Depth=1
	s_or_b32 exec_lo, exec_lo, s88
.LBB1_5507:                             ;   in Loop: Header=BB1_2 Depth=1
	s_and_not1_saveexec_b32 s87, s87
; %bb.5508:                             ;   in Loop: Header=BB1_2 Depth=1
	s_delay_alu instid0(VALU_DEP_1)
	v_add_nc_u32_e32 v10, 0x30000000, v10
; %bb.5509:                             ;   in Loop: Header=BB1_2 Depth=1
	s_or_b32 exec_lo, exec_lo, s87
.LBB1_5510:                             ;   in Loop: Header=BB1_2 Depth=1
	s_and_not1_saveexec_b32 s86, s86
; %bb.5511:                             ;   in Loop: Header=BB1_2 Depth=1
	s_delay_alu instid0(VALU_DEP_1)
	v_add_nc_u32_e32 v10, 0x34000000, v10
; %bb.5512:                             ;   in Loop: Header=BB1_2 Depth=1
	s_or_b32 exec_lo, exec_lo, s86
.LBB1_5513:                             ;   in Loop: Header=BB1_2 Depth=1
	s_and_not1_saveexec_b32 s85, s85
; %bb.5514:                             ;   in Loop: Header=BB1_2 Depth=1
	s_delay_alu instid0(VALU_DEP_1)
	v_add_nc_u32_e32 v10, 0x38000000, v10
; %bb.5515:                             ;   in Loop: Header=BB1_2 Depth=1
	s_or_b32 exec_lo, exec_lo, s85
.LBB1_5516:                             ;   in Loop: Header=BB1_2 Depth=1
	s_and_not1_saveexec_b32 s84, s84
; %bb.5517:                             ;   in Loop: Header=BB1_2 Depth=1
	s_delay_alu instid0(VALU_DEP_1)
	v_add_nc_u32_e32 v10, 0x3c000000, v10
; %bb.5518:                             ;   in Loop: Header=BB1_2 Depth=1
	s_or_b32 exec_lo, exec_lo, s84
.LBB1_5519:                             ;   in Loop: Header=BB1_2 Depth=1
	s_and_not1_saveexec_b32 s83, s83
; %bb.5520:                             ;   in Loop: Header=BB1_2 Depth=1
	s_delay_alu instid0(VALU_DEP_1)
	v_add_nc_u32_e32 v10, 2.0, v10
; %bb.5521:                             ;   in Loop: Header=BB1_2 Depth=1
	s_or_b32 exec_lo, exec_lo, s83
.LBB1_5522:                             ;   in Loop: Header=BB1_2 Depth=1
	s_and_not1_saveexec_b32 s82, s82
; %bb.5523:                             ;   in Loop: Header=BB1_2 Depth=1
	s_delay_alu instid0(VALU_DEP_1)
	v_add_nc_u32_e32 v10, 0x44000000, v10
; %bb.5524:                             ;   in Loop: Header=BB1_2 Depth=1
	s_or_b32 exec_lo, exec_lo, s82
.LBB1_5525:                             ;   in Loop: Header=BB1_2 Depth=1
	s_and_not1_saveexec_b32 s81, s81
; %bb.5526:                             ;   in Loop: Header=BB1_2 Depth=1
	s_delay_alu instid0(VALU_DEP_1)
	v_add_nc_u32_e32 v10, 0x48000000, v10
; %bb.5527:                             ;   in Loop: Header=BB1_2 Depth=1
	s_or_b32 exec_lo, exec_lo, s81
.LBB1_5528:                             ;   in Loop: Header=BB1_2 Depth=1
	s_and_not1_saveexec_b32 s80, s80
; %bb.5529:                             ;   in Loop: Header=BB1_2 Depth=1
	s_delay_alu instid0(VALU_DEP_1)
	v_add_nc_u32_e32 v10, 0x4c000000, v10
; %bb.5530:                             ;   in Loop: Header=BB1_2 Depth=1
	s_or_b32 exec_lo, exec_lo, s80
.LBB1_5531:                             ;   in Loop: Header=BB1_2 Depth=1
	s_and_not1_saveexec_b32 s79, s79
; %bb.5532:                             ;   in Loop: Header=BB1_2 Depth=1
	s_delay_alu instid0(VALU_DEP_1)
	v_add_nc_u32_e32 v10, 0x50000000, v10
; %bb.5533:                             ;   in Loop: Header=BB1_2 Depth=1
	s_or_b32 exec_lo, exec_lo, s79
.LBB1_5534:                             ;   in Loop: Header=BB1_2 Depth=1
	s_and_not1_saveexec_b32 s78, s78
; %bb.5535:                             ;   in Loop: Header=BB1_2 Depth=1
	s_delay_alu instid0(VALU_DEP_1)
	v_add_nc_u32_e32 v10, 0x54000000, v10
; %bb.5536:                             ;   in Loop: Header=BB1_2 Depth=1
	s_or_b32 exec_lo, exec_lo, s78
.LBB1_5537:                             ;   in Loop: Header=BB1_2 Depth=1
	s_and_not1_saveexec_b32 s77, s77
; %bb.5538:                             ;   in Loop: Header=BB1_2 Depth=1
	s_delay_alu instid0(VALU_DEP_1)
	v_add_nc_u32_e32 v10, 0x58000000, v10
; %bb.5539:                             ;   in Loop: Header=BB1_2 Depth=1
	s_or_b32 exec_lo, exec_lo, s77
.LBB1_5540:                             ;   in Loop: Header=BB1_2 Depth=1
	s_and_not1_saveexec_b32 s76, s76
; %bb.5541:                             ;   in Loop: Header=BB1_2 Depth=1
	s_delay_alu instid0(VALU_DEP_1)
	v_add_nc_u32_e32 v10, 0x5c000000, v10
; %bb.5542:                             ;   in Loop: Header=BB1_2 Depth=1
	s_or_b32 exec_lo, exec_lo, s76
.LBB1_5543:                             ;   in Loop: Header=BB1_2 Depth=1
	s_and_not1_saveexec_b32 s75, s75
; %bb.5544:                             ;   in Loop: Header=BB1_2 Depth=1
	s_delay_alu instid0(VALU_DEP_1)
	v_add_nc_u32_e32 v10, 0x60000000, v10
; %bb.5545:                             ;   in Loop: Header=BB1_2 Depth=1
	s_or_b32 exec_lo, exec_lo, s75
.LBB1_5546:                             ;   in Loop: Header=BB1_2 Depth=1
	s_and_not1_saveexec_b32 s74, s74
; %bb.5547:                             ;   in Loop: Header=BB1_2 Depth=1
	s_delay_alu instid0(VALU_DEP_1)
	v_add_nc_u32_e32 v10, 0x64000000, v10
; %bb.5548:                             ;   in Loop: Header=BB1_2 Depth=1
	s_or_b32 exec_lo, exec_lo, s74
.LBB1_5549:                             ;   in Loop: Header=BB1_2 Depth=1
	s_and_not1_saveexec_b32 s73, s73
; %bb.5550:                             ;   in Loop: Header=BB1_2 Depth=1
	s_delay_alu instid0(VALU_DEP_1)
	v_add_nc_u32_e32 v10, 0x68000000, v10
; %bb.5551:                             ;   in Loop: Header=BB1_2 Depth=1
	s_or_b32 exec_lo, exec_lo, s73
.LBB1_5552:                             ;   in Loop: Header=BB1_2 Depth=1
	s_and_not1_saveexec_b32 s72, s72
; %bb.5553:                             ;   in Loop: Header=BB1_2 Depth=1
	s_delay_alu instid0(VALU_DEP_1)
	v_add_nc_u32_e32 v10, 0x6c000000, v10
; %bb.5554:                             ;   in Loop: Header=BB1_2 Depth=1
	s_or_b32 exec_lo, exec_lo, s72
.LBB1_5555:                             ;   in Loop: Header=BB1_2 Depth=1
	s_and_not1_saveexec_b32 s35, s35
; %bb.5556:                             ;   in Loop: Header=BB1_2 Depth=1
	s_delay_alu instid0(VALU_DEP_1)
	v_add_nc_u32_e32 v10, 0x70000000, v10
; %bb.5557:                             ;   in Loop: Header=BB1_2 Depth=1
	s_or_b32 exec_lo, exec_lo, s35
.LBB1_5558:                             ;   in Loop: Header=BB1_2 Depth=1
	s_and_not1_saveexec_b32 s34, s34
; %bb.5559:                             ;   in Loop: Header=BB1_2 Depth=1
	s_delay_alu instid0(VALU_DEP_1)
	v_add_nc_u32_e32 v10, 0x74000000, v10
; %bb.5560:                             ;   in Loop: Header=BB1_2 Depth=1
	s_or_b32 exec_lo, exec_lo, s34
.LBB1_5561:                             ;   in Loop: Header=BB1_2 Depth=1
	s_and_not1_saveexec_b32 s33, s33
; %bb.5562:                             ;   in Loop: Header=BB1_2 Depth=1
	s_delay_alu instid0(VALU_DEP_1)
	v_add_nc_u32_e32 v10, 0x78000000, v10
; %bb.5563:                             ;   in Loop: Header=BB1_2 Depth=1
	s_or_b32 exec_lo, exec_lo, s33
.LBB1_5564:                             ;   in Loop: Header=BB1_2 Depth=1
	s_and_not1_saveexec_b32 s31, s31
; %bb.5565:                             ;   in Loop: Header=BB1_2 Depth=1
	s_delay_alu instid0(VALU_DEP_1)
	v_add_nc_u32_e32 v10, 0x7c000000, v10
; %bb.5566:                             ;   in Loop: Header=BB1_2 Depth=1
	s_or_b32 exec_lo, exec_lo, s31
	v_dual_mov_b32 v0, s1 :: v_dual_mov_b32 v9, 0x7c
	v_add3_u32 v11, v8, s30, 0x30000
	s_mov_b32 s31, exec_lo
	ds_load_2addr_b64 v[12:15], v0 offset0:156 offset1:157
	ds_load_b64 v[16:17], v0 offset:1264
	global_store_b32 v11, v10, s[2:3] scale_offset
	s_wait_dscnt 0x1
	v_mul_f64_e32 v[0:1], v[4:5], v[14:15]
	s_delay_alu instid0(VALU_DEP_1) | instskip(SKIP_1) | instid1(VALU_DEP_1)
	v_fmac_f64_e32 v[0:1], v[2:3], v[12:13]
	s_wait_dscnt 0x0
	v_fmac_f64_e32 v[0:1], v[6:7], v[16:17]
	s_wait_xcnt 0x0
	s_delay_alu instid0(VALU_DEP_1)
	v_cmpx_ngt_f64_e32 s[28:29], v[0:1]
	s_cbranch_execz .LBB1_5628
; %bb.5567:                             ;   in Loop: Header=BB1_2 Depth=1
	v_mov_b32_e32 v9, 0x78
	s_mov_b32 s33, exec_lo
	v_cmpx_ngt_f64_e32 s[70:71], v[0:1]
	s_cbranch_execz .LBB1_5627
; %bb.5568:                             ;   in Loop: Header=BB1_2 Depth=1
	v_mov_b32_e32 v9, 0x74
	s_mov_b32 s34, exec_lo
	;; [unrolled: 5-line block ×30, first 2 shown]
	v_cmpx_gt_f64_e32 s[52:53], v[0:1]
; %bb.5597:                             ;   in Loop: Header=BB1_2 Depth=1
	v_mov_b32_e32 v9, 4
; %bb.5598:                             ;   in Loop: Header=BB1_2 Depth=1
	s_or_b32 exec_lo, exec_lo, s98
.LBB1_5599:                             ;   in Loop: Header=BB1_2 Depth=1
	s_delay_alu instid0(SALU_CYCLE_1)
	s_or_b32 exec_lo, exec_lo, s97
.LBB1_5600:                             ;   in Loop: Header=BB1_2 Depth=1
	s_delay_alu instid0(SALU_CYCLE_1)
	s_or_b32 exec_lo, exec_lo, s96
.LBB1_5601:                             ;   in Loop: Header=BB1_2 Depth=1
	s_delay_alu instid0(SALU_CYCLE_1)
	s_or_b32 exec_lo, exec_lo, s95
.LBB1_5602:                             ;   in Loop: Header=BB1_2 Depth=1
	s_delay_alu instid0(SALU_CYCLE_1)
	s_or_b32 exec_lo, exec_lo, s94
.LBB1_5603:                             ;   in Loop: Header=BB1_2 Depth=1
	s_delay_alu instid0(SALU_CYCLE_1)
	s_or_b32 exec_lo, exec_lo, s93
.LBB1_5604:                             ;   in Loop: Header=BB1_2 Depth=1
	s_delay_alu instid0(SALU_CYCLE_1)
	s_or_b32 exec_lo, exec_lo, s92
.LBB1_5605:                             ;   in Loop: Header=BB1_2 Depth=1
	s_delay_alu instid0(SALU_CYCLE_1)
	s_or_b32 exec_lo, exec_lo, s91
.LBB1_5606:                             ;   in Loop: Header=BB1_2 Depth=1
	s_delay_alu instid0(SALU_CYCLE_1)
	s_or_b32 exec_lo, exec_lo, s90
.LBB1_5607:                             ;   in Loop: Header=BB1_2 Depth=1
	s_delay_alu instid0(SALU_CYCLE_1)
	s_or_b32 exec_lo, exec_lo, s89
.LBB1_5608:                             ;   in Loop: Header=BB1_2 Depth=1
	s_delay_alu instid0(SALU_CYCLE_1)
	s_or_b32 exec_lo, exec_lo, s88
.LBB1_5609:                             ;   in Loop: Header=BB1_2 Depth=1
	s_delay_alu instid0(SALU_CYCLE_1)
	s_or_b32 exec_lo, exec_lo, s87
.LBB1_5610:                             ;   in Loop: Header=BB1_2 Depth=1
	s_delay_alu instid0(SALU_CYCLE_1)
	s_or_b32 exec_lo, exec_lo, s86
.LBB1_5611:                             ;   in Loop: Header=BB1_2 Depth=1
	s_delay_alu instid0(SALU_CYCLE_1)
	s_or_b32 exec_lo, exec_lo, s85
.LBB1_5612:                             ;   in Loop: Header=BB1_2 Depth=1
	s_delay_alu instid0(SALU_CYCLE_1)
	s_or_b32 exec_lo, exec_lo, s84
.LBB1_5613:                             ;   in Loop: Header=BB1_2 Depth=1
	s_delay_alu instid0(SALU_CYCLE_1)
	s_or_b32 exec_lo, exec_lo, s83
.LBB1_5614:                             ;   in Loop: Header=BB1_2 Depth=1
	s_delay_alu instid0(SALU_CYCLE_1)
	s_or_b32 exec_lo, exec_lo, s82
.LBB1_5615:                             ;   in Loop: Header=BB1_2 Depth=1
	s_delay_alu instid0(SALU_CYCLE_1)
	s_or_b32 exec_lo, exec_lo, s81
.LBB1_5616:                             ;   in Loop: Header=BB1_2 Depth=1
	s_delay_alu instid0(SALU_CYCLE_1)
	s_or_b32 exec_lo, exec_lo, s80
.LBB1_5617:                             ;   in Loop: Header=BB1_2 Depth=1
	s_delay_alu instid0(SALU_CYCLE_1)
	s_or_b32 exec_lo, exec_lo, s79
.LBB1_5618:                             ;   in Loop: Header=BB1_2 Depth=1
	s_delay_alu instid0(SALU_CYCLE_1)
	s_or_b32 exec_lo, exec_lo, s78
.LBB1_5619:                             ;   in Loop: Header=BB1_2 Depth=1
	s_delay_alu instid0(SALU_CYCLE_1)
	s_or_b32 exec_lo, exec_lo, s77
.LBB1_5620:                             ;   in Loop: Header=BB1_2 Depth=1
	s_delay_alu instid0(SALU_CYCLE_1)
	s_or_b32 exec_lo, exec_lo, s76
.LBB1_5621:                             ;   in Loop: Header=BB1_2 Depth=1
	s_delay_alu instid0(SALU_CYCLE_1)
	s_or_b32 exec_lo, exec_lo, s75
.LBB1_5622:                             ;   in Loop: Header=BB1_2 Depth=1
	s_delay_alu instid0(SALU_CYCLE_1)
	s_or_b32 exec_lo, exec_lo, s74
.LBB1_5623:                             ;   in Loop: Header=BB1_2 Depth=1
	s_delay_alu instid0(SALU_CYCLE_1)
	s_or_b32 exec_lo, exec_lo, s73
.LBB1_5624:                             ;   in Loop: Header=BB1_2 Depth=1
	s_delay_alu instid0(SALU_CYCLE_1)
	s_or_b32 exec_lo, exec_lo, s72
.LBB1_5625:                             ;   in Loop: Header=BB1_2 Depth=1
	s_delay_alu instid0(SALU_CYCLE_1)
	s_or_b32 exec_lo, exec_lo, s35
.LBB1_5626:                             ;   in Loop: Header=BB1_2 Depth=1
	s_delay_alu instid0(SALU_CYCLE_1)
	s_or_b32 exec_lo, exec_lo, s34
.LBB1_5627:                             ;   in Loop: Header=BB1_2 Depth=1
	s_delay_alu instid0(SALU_CYCLE_1)
	s_or_b32 exec_lo, exec_lo, s33
.LBB1_5628:                             ;   in Loop: Header=BB1_2 Depth=1
	s_delay_alu instid0(SALU_CYCLE_1)
	s_or_b32 exec_lo, exec_lo, s31
	v_mov_b32_e32 v0, s1
	s_mov_b32 s31, exec_lo
	ds_load_2addr_b64 v[10:13], v0 offset0:159 offset1:160
	ds_load_b64 v[14:15], v0 offset:1288
	s_wait_dscnt 0x1
	v_mul_f64_e32 v[0:1], v[4:5], v[12:13]
	s_delay_alu instid0(VALU_DEP_1) | instskip(SKIP_1) | instid1(VALU_DEP_1)
	v_fmac_f64_e32 v[0:1], v[2:3], v[10:11]
	s_wait_dscnt 0x0
	v_fmac_f64_e32 v[0:1], v[6:7], v[14:15]
	s_delay_alu instid0(VALU_DEP_1)
	v_cmpx_ngt_f64_e32 s[28:29], v[0:1]
	s_xor_b32 s31, exec_lo, s31
	s_cbranch_execz .LBB1_5748
; %bb.5629:                             ;   in Loop: Header=BB1_2 Depth=1
	s_mov_b32 s33, exec_lo
	v_cmpx_ngt_f64_e32 s[70:71], v[0:1]
	s_xor_b32 s33, exec_lo, s33
	s_cbranch_execz .LBB1_5745
; %bb.5630:                             ;   in Loop: Header=BB1_2 Depth=1
	s_mov_b32 s34, exec_lo
	;; [unrolled: 5-line block ×30, first 2 shown]
	v_cmpx_gt_f64_e32 s[52:53], v[0:1]
; %bb.5659:                             ;   in Loop: Header=BB1_2 Depth=1
	v_or_b32_e32 v9, 0x400, v9
; %bb.5660:                             ;   in Loop: Header=BB1_2 Depth=1
	s_or_b32 exec_lo, exec_lo, s98
.LBB1_5661:                             ;   in Loop: Header=BB1_2 Depth=1
	s_and_not1_saveexec_b32 s97, s97
; %bb.5662:                             ;   in Loop: Header=BB1_2 Depth=1
	s_delay_alu instid0(VALU_DEP_1)
	v_or_b32_e32 v9, 0x800, v9
; %bb.5663:                             ;   in Loop: Header=BB1_2 Depth=1
	s_or_b32 exec_lo, exec_lo, s97
.LBB1_5664:                             ;   in Loop: Header=BB1_2 Depth=1
	s_and_not1_saveexec_b32 s96, s96
; %bb.5665:                             ;   in Loop: Header=BB1_2 Depth=1
	s_delay_alu instid0(VALU_DEP_1)
	v_or_b32_e32 v9, 0xc00, v9
; %bb.5666:                             ;   in Loop: Header=BB1_2 Depth=1
	s_or_b32 exec_lo, exec_lo, s96
.LBB1_5667:                             ;   in Loop: Header=BB1_2 Depth=1
	s_and_not1_saveexec_b32 s95, s95
; %bb.5668:                             ;   in Loop: Header=BB1_2 Depth=1
	s_delay_alu instid0(VALU_DEP_1)
	v_or_b32_e32 v9, 0x1000, v9
; %bb.5669:                             ;   in Loop: Header=BB1_2 Depth=1
	s_or_b32 exec_lo, exec_lo, s95
.LBB1_5670:                             ;   in Loop: Header=BB1_2 Depth=1
	s_and_not1_saveexec_b32 s94, s94
; %bb.5671:                             ;   in Loop: Header=BB1_2 Depth=1
	s_delay_alu instid0(VALU_DEP_1)
	v_or_b32_e32 v9, 0x1400, v9
; %bb.5672:                             ;   in Loop: Header=BB1_2 Depth=1
	s_or_b32 exec_lo, exec_lo, s94
.LBB1_5673:                             ;   in Loop: Header=BB1_2 Depth=1
	s_and_not1_saveexec_b32 s93, s93
; %bb.5674:                             ;   in Loop: Header=BB1_2 Depth=1
	s_delay_alu instid0(VALU_DEP_1)
	v_or_b32_e32 v9, 0x1800, v9
; %bb.5675:                             ;   in Loop: Header=BB1_2 Depth=1
	s_or_b32 exec_lo, exec_lo, s93
.LBB1_5676:                             ;   in Loop: Header=BB1_2 Depth=1
	s_and_not1_saveexec_b32 s92, s92
; %bb.5677:                             ;   in Loop: Header=BB1_2 Depth=1
	s_delay_alu instid0(VALU_DEP_1)
	v_or_b32_e32 v9, 0x1c00, v9
; %bb.5678:                             ;   in Loop: Header=BB1_2 Depth=1
	s_or_b32 exec_lo, exec_lo, s92
.LBB1_5679:                             ;   in Loop: Header=BB1_2 Depth=1
	s_and_not1_saveexec_b32 s91, s91
; %bb.5680:                             ;   in Loop: Header=BB1_2 Depth=1
	s_delay_alu instid0(VALU_DEP_1)
	v_or_b32_e32 v9, 0x2000, v9
; %bb.5681:                             ;   in Loop: Header=BB1_2 Depth=1
	s_or_b32 exec_lo, exec_lo, s91
.LBB1_5682:                             ;   in Loop: Header=BB1_2 Depth=1
	s_and_not1_saveexec_b32 s90, s90
; %bb.5683:                             ;   in Loop: Header=BB1_2 Depth=1
	s_delay_alu instid0(VALU_DEP_1)
	v_or_b32_e32 v9, 0x2400, v9
; %bb.5684:                             ;   in Loop: Header=BB1_2 Depth=1
	s_or_b32 exec_lo, exec_lo, s90
.LBB1_5685:                             ;   in Loop: Header=BB1_2 Depth=1
	s_and_not1_saveexec_b32 s89, s89
; %bb.5686:                             ;   in Loop: Header=BB1_2 Depth=1
	s_delay_alu instid0(VALU_DEP_1)
	v_or_b32_e32 v9, 0x2800, v9
; %bb.5687:                             ;   in Loop: Header=BB1_2 Depth=1
	s_or_b32 exec_lo, exec_lo, s89
.LBB1_5688:                             ;   in Loop: Header=BB1_2 Depth=1
	s_and_not1_saveexec_b32 s88, s88
; %bb.5689:                             ;   in Loop: Header=BB1_2 Depth=1
	s_delay_alu instid0(VALU_DEP_1)
	v_or_b32_e32 v9, 0x2c00, v9
; %bb.5690:                             ;   in Loop: Header=BB1_2 Depth=1
	s_or_b32 exec_lo, exec_lo, s88
.LBB1_5691:                             ;   in Loop: Header=BB1_2 Depth=1
	s_and_not1_saveexec_b32 s87, s87
; %bb.5692:                             ;   in Loop: Header=BB1_2 Depth=1
	s_delay_alu instid0(VALU_DEP_1)
	v_or_b32_e32 v9, 0x3000, v9
; %bb.5693:                             ;   in Loop: Header=BB1_2 Depth=1
	s_or_b32 exec_lo, exec_lo, s87
.LBB1_5694:                             ;   in Loop: Header=BB1_2 Depth=1
	s_and_not1_saveexec_b32 s86, s86
; %bb.5695:                             ;   in Loop: Header=BB1_2 Depth=1
	s_delay_alu instid0(VALU_DEP_1)
	v_or_b32_e32 v9, 0x3400, v9
; %bb.5696:                             ;   in Loop: Header=BB1_2 Depth=1
	s_or_b32 exec_lo, exec_lo, s86
.LBB1_5697:                             ;   in Loop: Header=BB1_2 Depth=1
	s_and_not1_saveexec_b32 s85, s85
; %bb.5698:                             ;   in Loop: Header=BB1_2 Depth=1
	s_delay_alu instid0(VALU_DEP_1)
	v_or_b32_e32 v9, 0x3800, v9
; %bb.5699:                             ;   in Loop: Header=BB1_2 Depth=1
	s_or_b32 exec_lo, exec_lo, s85
.LBB1_5700:                             ;   in Loop: Header=BB1_2 Depth=1
	s_and_not1_saveexec_b32 s84, s84
; %bb.5701:                             ;   in Loop: Header=BB1_2 Depth=1
	s_delay_alu instid0(VALU_DEP_1)
	v_or_b32_e32 v9, 0x3c00, v9
; %bb.5702:                             ;   in Loop: Header=BB1_2 Depth=1
	s_or_b32 exec_lo, exec_lo, s84
.LBB1_5703:                             ;   in Loop: Header=BB1_2 Depth=1
	s_and_not1_saveexec_b32 s83, s83
; %bb.5704:                             ;   in Loop: Header=BB1_2 Depth=1
	s_delay_alu instid0(VALU_DEP_1)
	v_or_b32_e32 v9, 0x4000, v9
; %bb.5705:                             ;   in Loop: Header=BB1_2 Depth=1
	s_or_b32 exec_lo, exec_lo, s83
.LBB1_5706:                             ;   in Loop: Header=BB1_2 Depth=1
	s_and_not1_saveexec_b32 s82, s82
; %bb.5707:                             ;   in Loop: Header=BB1_2 Depth=1
	s_delay_alu instid0(VALU_DEP_1)
	v_or_b32_e32 v9, 0x4400, v9
; %bb.5708:                             ;   in Loop: Header=BB1_2 Depth=1
	s_or_b32 exec_lo, exec_lo, s82
.LBB1_5709:                             ;   in Loop: Header=BB1_2 Depth=1
	s_and_not1_saveexec_b32 s81, s81
; %bb.5710:                             ;   in Loop: Header=BB1_2 Depth=1
	s_delay_alu instid0(VALU_DEP_1)
	v_or_b32_e32 v9, 0x4800, v9
; %bb.5711:                             ;   in Loop: Header=BB1_2 Depth=1
	s_or_b32 exec_lo, exec_lo, s81
.LBB1_5712:                             ;   in Loop: Header=BB1_2 Depth=1
	s_and_not1_saveexec_b32 s80, s80
; %bb.5713:                             ;   in Loop: Header=BB1_2 Depth=1
	s_delay_alu instid0(VALU_DEP_1)
	v_or_b32_e32 v9, 0x4c00, v9
; %bb.5714:                             ;   in Loop: Header=BB1_2 Depth=1
	s_or_b32 exec_lo, exec_lo, s80
.LBB1_5715:                             ;   in Loop: Header=BB1_2 Depth=1
	s_and_not1_saveexec_b32 s79, s79
; %bb.5716:                             ;   in Loop: Header=BB1_2 Depth=1
	s_delay_alu instid0(VALU_DEP_1)
	v_or_b32_e32 v9, 0x5000, v9
; %bb.5717:                             ;   in Loop: Header=BB1_2 Depth=1
	s_or_b32 exec_lo, exec_lo, s79
.LBB1_5718:                             ;   in Loop: Header=BB1_2 Depth=1
	s_and_not1_saveexec_b32 s78, s78
; %bb.5719:                             ;   in Loop: Header=BB1_2 Depth=1
	s_delay_alu instid0(VALU_DEP_1)
	v_or_b32_e32 v9, 0x5400, v9
; %bb.5720:                             ;   in Loop: Header=BB1_2 Depth=1
	s_or_b32 exec_lo, exec_lo, s78
.LBB1_5721:                             ;   in Loop: Header=BB1_2 Depth=1
	s_and_not1_saveexec_b32 s77, s77
; %bb.5722:                             ;   in Loop: Header=BB1_2 Depth=1
	s_delay_alu instid0(VALU_DEP_1)
	v_or_b32_e32 v9, 0x5800, v9
; %bb.5723:                             ;   in Loop: Header=BB1_2 Depth=1
	s_or_b32 exec_lo, exec_lo, s77
.LBB1_5724:                             ;   in Loop: Header=BB1_2 Depth=1
	s_and_not1_saveexec_b32 s76, s76
; %bb.5725:                             ;   in Loop: Header=BB1_2 Depth=1
	s_delay_alu instid0(VALU_DEP_1)
	v_or_b32_e32 v9, 0x5c00, v9
; %bb.5726:                             ;   in Loop: Header=BB1_2 Depth=1
	s_or_b32 exec_lo, exec_lo, s76
.LBB1_5727:                             ;   in Loop: Header=BB1_2 Depth=1
	s_and_not1_saveexec_b32 s75, s75
; %bb.5728:                             ;   in Loop: Header=BB1_2 Depth=1
	s_delay_alu instid0(VALU_DEP_1)
	v_or_b32_e32 v9, 0x6000, v9
; %bb.5729:                             ;   in Loop: Header=BB1_2 Depth=1
	s_or_b32 exec_lo, exec_lo, s75
.LBB1_5730:                             ;   in Loop: Header=BB1_2 Depth=1
	s_and_not1_saveexec_b32 s74, s74
; %bb.5731:                             ;   in Loop: Header=BB1_2 Depth=1
	s_delay_alu instid0(VALU_DEP_1)
	v_or_b32_e32 v9, 0x6400, v9
; %bb.5732:                             ;   in Loop: Header=BB1_2 Depth=1
	s_or_b32 exec_lo, exec_lo, s74
.LBB1_5733:                             ;   in Loop: Header=BB1_2 Depth=1
	s_and_not1_saveexec_b32 s73, s73
; %bb.5734:                             ;   in Loop: Header=BB1_2 Depth=1
	s_delay_alu instid0(VALU_DEP_1)
	v_or_b32_e32 v9, 0x6800, v9
; %bb.5735:                             ;   in Loop: Header=BB1_2 Depth=1
	s_or_b32 exec_lo, exec_lo, s73
.LBB1_5736:                             ;   in Loop: Header=BB1_2 Depth=1
	s_and_not1_saveexec_b32 s72, s72
; %bb.5737:                             ;   in Loop: Header=BB1_2 Depth=1
	s_delay_alu instid0(VALU_DEP_1)
	v_or_b32_e32 v9, 0x6c00, v9
; %bb.5738:                             ;   in Loop: Header=BB1_2 Depth=1
	s_or_b32 exec_lo, exec_lo, s72
.LBB1_5739:                             ;   in Loop: Header=BB1_2 Depth=1
	s_and_not1_saveexec_b32 s35, s35
; %bb.5740:                             ;   in Loop: Header=BB1_2 Depth=1
	s_delay_alu instid0(VALU_DEP_1)
	v_or_b32_e32 v9, 0x7000, v9
; %bb.5741:                             ;   in Loop: Header=BB1_2 Depth=1
	s_or_b32 exec_lo, exec_lo, s35
.LBB1_5742:                             ;   in Loop: Header=BB1_2 Depth=1
	s_and_not1_saveexec_b32 s34, s34
; %bb.5743:                             ;   in Loop: Header=BB1_2 Depth=1
	s_delay_alu instid0(VALU_DEP_1)
	v_or_b32_e32 v9, 0x7400, v9
; %bb.5744:                             ;   in Loop: Header=BB1_2 Depth=1
	s_or_b32 exec_lo, exec_lo, s34
.LBB1_5745:                             ;   in Loop: Header=BB1_2 Depth=1
	s_and_not1_saveexec_b32 s33, s33
; %bb.5746:                             ;   in Loop: Header=BB1_2 Depth=1
	s_delay_alu instid0(VALU_DEP_1)
	v_or_b32_e32 v9, 0x7800, v9
; %bb.5747:                             ;   in Loop: Header=BB1_2 Depth=1
	s_or_b32 exec_lo, exec_lo, s33
.LBB1_5748:                             ;   in Loop: Header=BB1_2 Depth=1
	s_and_not1_saveexec_b32 s31, s31
; %bb.5749:                             ;   in Loop: Header=BB1_2 Depth=1
	s_delay_alu instid0(VALU_DEP_1)
	v_or_b32_e32 v9, 0x7c00, v9
; %bb.5750:                             ;   in Loop: Header=BB1_2 Depth=1
	s_or_b32 exec_lo, exec_lo, s31
	v_mov_b32_e32 v0, s1
	s_mov_b32 s31, exec_lo
	ds_load_2addr_b64 v[10:13], v0 offset0:162 offset1:163
	ds_load_b64 v[14:15], v0 offset:1312
	s_wait_dscnt 0x1
	v_mul_f64_e32 v[0:1], v[4:5], v[12:13]
	s_delay_alu instid0(VALU_DEP_1) | instskip(SKIP_1) | instid1(VALU_DEP_1)
	v_fmac_f64_e32 v[0:1], v[2:3], v[10:11]
	s_wait_dscnt 0x0
	v_fmac_f64_e32 v[0:1], v[6:7], v[14:15]
	s_delay_alu instid0(VALU_DEP_1)
	v_cmpx_ngt_f64_e32 s[28:29], v[0:1]
	s_xor_b32 s31, exec_lo, s31
	s_cbranch_execz .LBB1_5870
; %bb.5751:                             ;   in Loop: Header=BB1_2 Depth=1
	s_mov_b32 s33, exec_lo
	v_cmpx_ngt_f64_e32 s[70:71], v[0:1]
	s_xor_b32 s33, exec_lo, s33
	s_cbranch_execz .LBB1_5867
; %bb.5752:                             ;   in Loop: Header=BB1_2 Depth=1
	s_mov_b32 s34, exec_lo
	;; [unrolled: 5-line block ×30, first 2 shown]
	v_cmpx_gt_f64_e32 s[52:53], v[0:1]
; %bb.5781:                             ;   in Loop: Header=BB1_2 Depth=1
	v_add_nc_u32_e32 v9, 0x40000, v9
; %bb.5782:                             ;   in Loop: Header=BB1_2 Depth=1
	s_or_b32 exec_lo, exec_lo, s98
.LBB1_5783:                             ;   in Loop: Header=BB1_2 Depth=1
	s_and_not1_saveexec_b32 s97, s97
; %bb.5784:                             ;   in Loop: Header=BB1_2 Depth=1
	s_delay_alu instid0(VALU_DEP_1)
	v_add_nc_u32_e32 v9, 0x80000, v9
; %bb.5785:                             ;   in Loop: Header=BB1_2 Depth=1
	s_or_b32 exec_lo, exec_lo, s97
.LBB1_5786:                             ;   in Loop: Header=BB1_2 Depth=1
	s_and_not1_saveexec_b32 s96, s96
; %bb.5787:                             ;   in Loop: Header=BB1_2 Depth=1
	s_delay_alu instid0(VALU_DEP_1)
	v_add_nc_u32_e32 v9, 0xc0000, v9
; %bb.5788:                             ;   in Loop: Header=BB1_2 Depth=1
	s_or_b32 exec_lo, exec_lo, s96
.LBB1_5789:                             ;   in Loop: Header=BB1_2 Depth=1
	s_and_not1_saveexec_b32 s95, s95
; %bb.5790:                             ;   in Loop: Header=BB1_2 Depth=1
	s_delay_alu instid0(VALU_DEP_1)
	v_add_nc_u32_e32 v9, 0x100000, v9
; %bb.5791:                             ;   in Loop: Header=BB1_2 Depth=1
	s_or_b32 exec_lo, exec_lo, s95
.LBB1_5792:                             ;   in Loop: Header=BB1_2 Depth=1
	s_and_not1_saveexec_b32 s94, s94
; %bb.5793:                             ;   in Loop: Header=BB1_2 Depth=1
	s_delay_alu instid0(VALU_DEP_1)
	v_add_nc_u32_e32 v9, 0x140000, v9
; %bb.5794:                             ;   in Loop: Header=BB1_2 Depth=1
	s_or_b32 exec_lo, exec_lo, s94
.LBB1_5795:                             ;   in Loop: Header=BB1_2 Depth=1
	s_and_not1_saveexec_b32 s93, s93
; %bb.5796:                             ;   in Loop: Header=BB1_2 Depth=1
	s_delay_alu instid0(VALU_DEP_1)
	v_add_nc_u32_e32 v9, 0x180000, v9
; %bb.5797:                             ;   in Loop: Header=BB1_2 Depth=1
	s_or_b32 exec_lo, exec_lo, s93
.LBB1_5798:                             ;   in Loop: Header=BB1_2 Depth=1
	s_and_not1_saveexec_b32 s92, s92
; %bb.5799:                             ;   in Loop: Header=BB1_2 Depth=1
	s_delay_alu instid0(VALU_DEP_1)
	v_add_nc_u32_e32 v9, 0x1c0000, v9
; %bb.5800:                             ;   in Loop: Header=BB1_2 Depth=1
	s_or_b32 exec_lo, exec_lo, s92
.LBB1_5801:                             ;   in Loop: Header=BB1_2 Depth=1
	s_and_not1_saveexec_b32 s91, s91
; %bb.5802:                             ;   in Loop: Header=BB1_2 Depth=1
	s_delay_alu instid0(VALU_DEP_1)
	v_add_nc_u32_e32 v9, 0x200000, v9
; %bb.5803:                             ;   in Loop: Header=BB1_2 Depth=1
	s_or_b32 exec_lo, exec_lo, s91
.LBB1_5804:                             ;   in Loop: Header=BB1_2 Depth=1
	s_and_not1_saveexec_b32 s90, s90
; %bb.5805:                             ;   in Loop: Header=BB1_2 Depth=1
	s_delay_alu instid0(VALU_DEP_1)
	v_add_nc_u32_e32 v9, 0x240000, v9
; %bb.5806:                             ;   in Loop: Header=BB1_2 Depth=1
	s_or_b32 exec_lo, exec_lo, s90
.LBB1_5807:                             ;   in Loop: Header=BB1_2 Depth=1
	s_and_not1_saveexec_b32 s89, s89
; %bb.5808:                             ;   in Loop: Header=BB1_2 Depth=1
	s_delay_alu instid0(VALU_DEP_1)
	v_add_nc_u32_e32 v9, 0x280000, v9
; %bb.5809:                             ;   in Loop: Header=BB1_2 Depth=1
	s_or_b32 exec_lo, exec_lo, s89
.LBB1_5810:                             ;   in Loop: Header=BB1_2 Depth=1
	s_and_not1_saveexec_b32 s88, s88
; %bb.5811:                             ;   in Loop: Header=BB1_2 Depth=1
	s_delay_alu instid0(VALU_DEP_1)
	v_add_nc_u32_e32 v9, 0x2c0000, v9
; %bb.5812:                             ;   in Loop: Header=BB1_2 Depth=1
	s_or_b32 exec_lo, exec_lo, s88
.LBB1_5813:                             ;   in Loop: Header=BB1_2 Depth=1
	s_and_not1_saveexec_b32 s87, s87
; %bb.5814:                             ;   in Loop: Header=BB1_2 Depth=1
	s_delay_alu instid0(VALU_DEP_1)
	v_add_nc_u32_e32 v9, 0x300000, v9
; %bb.5815:                             ;   in Loop: Header=BB1_2 Depth=1
	s_or_b32 exec_lo, exec_lo, s87
.LBB1_5816:                             ;   in Loop: Header=BB1_2 Depth=1
	s_and_not1_saveexec_b32 s86, s86
; %bb.5817:                             ;   in Loop: Header=BB1_2 Depth=1
	s_delay_alu instid0(VALU_DEP_1)
	v_add_nc_u32_e32 v9, 0x340000, v9
; %bb.5818:                             ;   in Loop: Header=BB1_2 Depth=1
	s_or_b32 exec_lo, exec_lo, s86
.LBB1_5819:                             ;   in Loop: Header=BB1_2 Depth=1
	s_and_not1_saveexec_b32 s85, s85
; %bb.5820:                             ;   in Loop: Header=BB1_2 Depth=1
	s_delay_alu instid0(VALU_DEP_1)
	v_add_nc_u32_e32 v9, 0x380000, v9
; %bb.5821:                             ;   in Loop: Header=BB1_2 Depth=1
	s_or_b32 exec_lo, exec_lo, s85
.LBB1_5822:                             ;   in Loop: Header=BB1_2 Depth=1
	s_and_not1_saveexec_b32 s84, s84
; %bb.5823:                             ;   in Loop: Header=BB1_2 Depth=1
	s_delay_alu instid0(VALU_DEP_1)
	v_add_nc_u32_e32 v9, 0x3c0000, v9
; %bb.5824:                             ;   in Loop: Header=BB1_2 Depth=1
	s_or_b32 exec_lo, exec_lo, s84
.LBB1_5825:                             ;   in Loop: Header=BB1_2 Depth=1
	s_and_not1_saveexec_b32 s83, s83
; %bb.5826:                             ;   in Loop: Header=BB1_2 Depth=1
	s_delay_alu instid0(VALU_DEP_1)
	v_add_nc_u32_e32 v9, 0x400000, v9
; %bb.5827:                             ;   in Loop: Header=BB1_2 Depth=1
	s_or_b32 exec_lo, exec_lo, s83
.LBB1_5828:                             ;   in Loop: Header=BB1_2 Depth=1
	s_and_not1_saveexec_b32 s82, s82
; %bb.5829:                             ;   in Loop: Header=BB1_2 Depth=1
	s_delay_alu instid0(VALU_DEP_1)
	v_add_nc_u32_e32 v9, 0x440000, v9
; %bb.5830:                             ;   in Loop: Header=BB1_2 Depth=1
	s_or_b32 exec_lo, exec_lo, s82
.LBB1_5831:                             ;   in Loop: Header=BB1_2 Depth=1
	s_and_not1_saveexec_b32 s81, s81
; %bb.5832:                             ;   in Loop: Header=BB1_2 Depth=1
	s_delay_alu instid0(VALU_DEP_1)
	v_add_nc_u32_e32 v9, 0x480000, v9
; %bb.5833:                             ;   in Loop: Header=BB1_2 Depth=1
	s_or_b32 exec_lo, exec_lo, s81
.LBB1_5834:                             ;   in Loop: Header=BB1_2 Depth=1
	s_and_not1_saveexec_b32 s80, s80
; %bb.5835:                             ;   in Loop: Header=BB1_2 Depth=1
	s_delay_alu instid0(VALU_DEP_1)
	v_add_nc_u32_e32 v9, 0x4c0000, v9
; %bb.5836:                             ;   in Loop: Header=BB1_2 Depth=1
	s_or_b32 exec_lo, exec_lo, s80
.LBB1_5837:                             ;   in Loop: Header=BB1_2 Depth=1
	s_and_not1_saveexec_b32 s79, s79
; %bb.5838:                             ;   in Loop: Header=BB1_2 Depth=1
	s_delay_alu instid0(VALU_DEP_1)
	v_add_nc_u32_e32 v9, 0x500000, v9
; %bb.5839:                             ;   in Loop: Header=BB1_2 Depth=1
	s_or_b32 exec_lo, exec_lo, s79
.LBB1_5840:                             ;   in Loop: Header=BB1_2 Depth=1
	s_and_not1_saveexec_b32 s78, s78
; %bb.5841:                             ;   in Loop: Header=BB1_2 Depth=1
	s_delay_alu instid0(VALU_DEP_1)
	v_add_nc_u32_e32 v9, 0x540000, v9
; %bb.5842:                             ;   in Loop: Header=BB1_2 Depth=1
	s_or_b32 exec_lo, exec_lo, s78
.LBB1_5843:                             ;   in Loop: Header=BB1_2 Depth=1
	s_and_not1_saveexec_b32 s77, s77
; %bb.5844:                             ;   in Loop: Header=BB1_2 Depth=1
	s_delay_alu instid0(VALU_DEP_1)
	v_add_nc_u32_e32 v9, 0x580000, v9
; %bb.5845:                             ;   in Loop: Header=BB1_2 Depth=1
	s_or_b32 exec_lo, exec_lo, s77
.LBB1_5846:                             ;   in Loop: Header=BB1_2 Depth=1
	s_and_not1_saveexec_b32 s76, s76
; %bb.5847:                             ;   in Loop: Header=BB1_2 Depth=1
	s_delay_alu instid0(VALU_DEP_1)
	v_add_nc_u32_e32 v9, 0x5c0000, v9
; %bb.5848:                             ;   in Loop: Header=BB1_2 Depth=1
	s_or_b32 exec_lo, exec_lo, s76
.LBB1_5849:                             ;   in Loop: Header=BB1_2 Depth=1
	s_and_not1_saveexec_b32 s75, s75
; %bb.5850:                             ;   in Loop: Header=BB1_2 Depth=1
	s_delay_alu instid0(VALU_DEP_1)
	v_add_nc_u32_e32 v9, 0x600000, v9
; %bb.5851:                             ;   in Loop: Header=BB1_2 Depth=1
	s_or_b32 exec_lo, exec_lo, s75
.LBB1_5852:                             ;   in Loop: Header=BB1_2 Depth=1
	s_and_not1_saveexec_b32 s74, s74
; %bb.5853:                             ;   in Loop: Header=BB1_2 Depth=1
	s_delay_alu instid0(VALU_DEP_1)
	v_add_nc_u32_e32 v9, 0x640000, v9
; %bb.5854:                             ;   in Loop: Header=BB1_2 Depth=1
	s_or_b32 exec_lo, exec_lo, s74
.LBB1_5855:                             ;   in Loop: Header=BB1_2 Depth=1
	s_and_not1_saveexec_b32 s73, s73
; %bb.5856:                             ;   in Loop: Header=BB1_2 Depth=1
	s_delay_alu instid0(VALU_DEP_1)
	v_add_nc_u32_e32 v9, 0x680000, v9
; %bb.5857:                             ;   in Loop: Header=BB1_2 Depth=1
	s_or_b32 exec_lo, exec_lo, s73
.LBB1_5858:                             ;   in Loop: Header=BB1_2 Depth=1
	s_and_not1_saveexec_b32 s72, s72
; %bb.5859:                             ;   in Loop: Header=BB1_2 Depth=1
	s_delay_alu instid0(VALU_DEP_1)
	v_add_nc_u32_e32 v9, 0x6c0000, v9
; %bb.5860:                             ;   in Loop: Header=BB1_2 Depth=1
	s_or_b32 exec_lo, exec_lo, s72
.LBB1_5861:                             ;   in Loop: Header=BB1_2 Depth=1
	s_and_not1_saveexec_b32 s35, s35
; %bb.5862:                             ;   in Loop: Header=BB1_2 Depth=1
	s_delay_alu instid0(VALU_DEP_1)
	v_add_nc_u32_e32 v9, 0x700000, v9
; %bb.5863:                             ;   in Loop: Header=BB1_2 Depth=1
	s_or_b32 exec_lo, exec_lo, s35
.LBB1_5864:                             ;   in Loop: Header=BB1_2 Depth=1
	s_and_not1_saveexec_b32 s34, s34
; %bb.5865:                             ;   in Loop: Header=BB1_2 Depth=1
	s_delay_alu instid0(VALU_DEP_1)
	v_add_nc_u32_e32 v9, 0x740000, v9
; %bb.5866:                             ;   in Loop: Header=BB1_2 Depth=1
	s_or_b32 exec_lo, exec_lo, s34
.LBB1_5867:                             ;   in Loop: Header=BB1_2 Depth=1
	s_and_not1_saveexec_b32 s33, s33
; %bb.5868:                             ;   in Loop: Header=BB1_2 Depth=1
	s_delay_alu instid0(VALU_DEP_1)
	v_add_nc_u32_e32 v9, 0x780000, v9
; %bb.5869:                             ;   in Loop: Header=BB1_2 Depth=1
	s_or_b32 exec_lo, exec_lo, s33
.LBB1_5870:                             ;   in Loop: Header=BB1_2 Depth=1
	s_and_not1_saveexec_b32 s31, s31
; %bb.5871:                             ;   in Loop: Header=BB1_2 Depth=1
	s_delay_alu instid0(VALU_DEP_1)
	v_add_nc_u32_e32 v9, 0x7c0000, v9
; %bb.5872:                             ;   in Loop: Header=BB1_2 Depth=1
	s_or_b32 exec_lo, exec_lo, s31
	v_mov_b32_e32 v0, s1
	s_mov_b32 s31, exec_lo
	ds_load_2addr_b64 v[10:13], v0 offset0:165 offset1:166
	ds_load_b64 v[14:15], v0 offset:1336
	s_wait_dscnt 0x1
	v_mul_f64_e32 v[0:1], v[4:5], v[12:13]
	s_delay_alu instid0(VALU_DEP_1) | instskip(SKIP_1) | instid1(VALU_DEP_1)
	v_fmac_f64_e32 v[0:1], v[2:3], v[10:11]
	s_wait_dscnt 0x0
	v_fmac_f64_e32 v[0:1], v[6:7], v[14:15]
	s_delay_alu instid0(VALU_DEP_1)
	v_cmpx_ngt_f64_e32 s[28:29], v[0:1]
	s_xor_b32 s31, exec_lo, s31
	s_cbranch_execz .LBB1_5992
; %bb.5873:                             ;   in Loop: Header=BB1_2 Depth=1
	s_mov_b32 s33, exec_lo
	v_cmpx_ngt_f64_e32 s[70:71], v[0:1]
	s_xor_b32 s33, exec_lo, s33
	s_cbranch_execz .LBB1_5989
; %bb.5874:                             ;   in Loop: Header=BB1_2 Depth=1
	s_mov_b32 s34, exec_lo
	;; [unrolled: 5-line block ×30, first 2 shown]
	v_cmpx_gt_f64_e32 s[52:53], v[0:1]
; %bb.5903:                             ;   in Loop: Header=BB1_2 Depth=1
	v_add_nc_u32_e32 v9, 0x4000000, v9
; %bb.5904:                             ;   in Loop: Header=BB1_2 Depth=1
	s_or_b32 exec_lo, exec_lo, s98
.LBB1_5905:                             ;   in Loop: Header=BB1_2 Depth=1
	s_and_not1_saveexec_b32 s97, s97
; %bb.5906:                             ;   in Loop: Header=BB1_2 Depth=1
	s_delay_alu instid0(VALU_DEP_1)
	v_add_nc_u32_e32 v9, 0x8000000, v9
; %bb.5907:                             ;   in Loop: Header=BB1_2 Depth=1
	s_or_b32 exec_lo, exec_lo, s97
.LBB1_5908:                             ;   in Loop: Header=BB1_2 Depth=1
	s_and_not1_saveexec_b32 s96, s96
; %bb.5909:                             ;   in Loop: Header=BB1_2 Depth=1
	s_delay_alu instid0(VALU_DEP_1)
	v_add_nc_u32_e32 v9, 0xc000000, v9
; %bb.5910:                             ;   in Loop: Header=BB1_2 Depth=1
	s_or_b32 exec_lo, exec_lo, s96
.LBB1_5911:                             ;   in Loop: Header=BB1_2 Depth=1
	s_and_not1_saveexec_b32 s95, s95
; %bb.5912:                             ;   in Loop: Header=BB1_2 Depth=1
	s_delay_alu instid0(VALU_DEP_1)
	v_add_nc_u32_e32 v9, 0x10000000, v9
; %bb.5913:                             ;   in Loop: Header=BB1_2 Depth=1
	s_or_b32 exec_lo, exec_lo, s95
.LBB1_5914:                             ;   in Loop: Header=BB1_2 Depth=1
	s_and_not1_saveexec_b32 s94, s94
; %bb.5915:                             ;   in Loop: Header=BB1_2 Depth=1
	s_delay_alu instid0(VALU_DEP_1)
	v_add_nc_u32_e32 v9, 0x14000000, v9
; %bb.5916:                             ;   in Loop: Header=BB1_2 Depth=1
	s_or_b32 exec_lo, exec_lo, s94
.LBB1_5917:                             ;   in Loop: Header=BB1_2 Depth=1
	s_and_not1_saveexec_b32 s93, s93
; %bb.5918:                             ;   in Loop: Header=BB1_2 Depth=1
	s_delay_alu instid0(VALU_DEP_1)
	v_add_nc_u32_e32 v9, 0x18000000, v9
; %bb.5919:                             ;   in Loop: Header=BB1_2 Depth=1
	s_or_b32 exec_lo, exec_lo, s93
.LBB1_5920:                             ;   in Loop: Header=BB1_2 Depth=1
	s_and_not1_saveexec_b32 s92, s92
; %bb.5921:                             ;   in Loop: Header=BB1_2 Depth=1
	s_delay_alu instid0(VALU_DEP_1)
	v_add_nc_u32_e32 v9, 0x1c000000, v9
; %bb.5922:                             ;   in Loop: Header=BB1_2 Depth=1
	s_or_b32 exec_lo, exec_lo, s92
.LBB1_5923:                             ;   in Loop: Header=BB1_2 Depth=1
	s_and_not1_saveexec_b32 s91, s91
; %bb.5924:                             ;   in Loop: Header=BB1_2 Depth=1
	s_delay_alu instid0(VALU_DEP_1)
	v_add_nc_u32_e32 v9, 0x20000000, v9
; %bb.5925:                             ;   in Loop: Header=BB1_2 Depth=1
	s_or_b32 exec_lo, exec_lo, s91
.LBB1_5926:                             ;   in Loop: Header=BB1_2 Depth=1
	s_and_not1_saveexec_b32 s90, s90
; %bb.5927:                             ;   in Loop: Header=BB1_2 Depth=1
	s_delay_alu instid0(VALU_DEP_1)
	v_add_nc_u32_e32 v9, 0x24000000, v9
; %bb.5928:                             ;   in Loop: Header=BB1_2 Depth=1
	s_or_b32 exec_lo, exec_lo, s90
.LBB1_5929:                             ;   in Loop: Header=BB1_2 Depth=1
	s_and_not1_saveexec_b32 s89, s89
; %bb.5930:                             ;   in Loop: Header=BB1_2 Depth=1
	s_delay_alu instid0(VALU_DEP_1)
	v_add_nc_u32_e32 v9, 0x28000000, v9
; %bb.5931:                             ;   in Loop: Header=BB1_2 Depth=1
	s_or_b32 exec_lo, exec_lo, s89
.LBB1_5932:                             ;   in Loop: Header=BB1_2 Depth=1
	s_and_not1_saveexec_b32 s88, s88
; %bb.5933:                             ;   in Loop: Header=BB1_2 Depth=1
	s_delay_alu instid0(VALU_DEP_1)
	v_add_nc_u32_e32 v9, 0x2c000000, v9
; %bb.5934:                             ;   in Loop: Header=BB1_2 Depth=1
	s_or_b32 exec_lo, exec_lo, s88
.LBB1_5935:                             ;   in Loop: Header=BB1_2 Depth=1
	s_and_not1_saveexec_b32 s87, s87
; %bb.5936:                             ;   in Loop: Header=BB1_2 Depth=1
	s_delay_alu instid0(VALU_DEP_1)
	v_add_nc_u32_e32 v9, 0x30000000, v9
; %bb.5937:                             ;   in Loop: Header=BB1_2 Depth=1
	s_or_b32 exec_lo, exec_lo, s87
.LBB1_5938:                             ;   in Loop: Header=BB1_2 Depth=1
	s_and_not1_saveexec_b32 s86, s86
; %bb.5939:                             ;   in Loop: Header=BB1_2 Depth=1
	s_delay_alu instid0(VALU_DEP_1)
	v_add_nc_u32_e32 v9, 0x34000000, v9
; %bb.5940:                             ;   in Loop: Header=BB1_2 Depth=1
	s_or_b32 exec_lo, exec_lo, s86
.LBB1_5941:                             ;   in Loop: Header=BB1_2 Depth=1
	s_and_not1_saveexec_b32 s85, s85
; %bb.5942:                             ;   in Loop: Header=BB1_2 Depth=1
	s_delay_alu instid0(VALU_DEP_1)
	v_add_nc_u32_e32 v9, 0x38000000, v9
; %bb.5943:                             ;   in Loop: Header=BB1_2 Depth=1
	s_or_b32 exec_lo, exec_lo, s85
.LBB1_5944:                             ;   in Loop: Header=BB1_2 Depth=1
	s_and_not1_saveexec_b32 s84, s84
; %bb.5945:                             ;   in Loop: Header=BB1_2 Depth=1
	s_delay_alu instid0(VALU_DEP_1)
	v_add_nc_u32_e32 v9, 0x3c000000, v9
; %bb.5946:                             ;   in Loop: Header=BB1_2 Depth=1
	s_or_b32 exec_lo, exec_lo, s84
.LBB1_5947:                             ;   in Loop: Header=BB1_2 Depth=1
	s_and_not1_saveexec_b32 s83, s83
; %bb.5948:                             ;   in Loop: Header=BB1_2 Depth=1
	s_delay_alu instid0(VALU_DEP_1)
	v_add_nc_u32_e32 v9, 2.0, v9
; %bb.5949:                             ;   in Loop: Header=BB1_2 Depth=1
	s_or_b32 exec_lo, exec_lo, s83
.LBB1_5950:                             ;   in Loop: Header=BB1_2 Depth=1
	s_and_not1_saveexec_b32 s82, s82
; %bb.5951:                             ;   in Loop: Header=BB1_2 Depth=1
	s_delay_alu instid0(VALU_DEP_1)
	v_add_nc_u32_e32 v9, 0x44000000, v9
; %bb.5952:                             ;   in Loop: Header=BB1_2 Depth=1
	s_or_b32 exec_lo, exec_lo, s82
.LBB1_5953:                             ;   in Loop: Header=BB1_2 Depth=1
	s_and_not1_saveexec_b32 s81, s81
; %bb.5954:                             ;   in Loop: Header=BB1_2 Depth=1
	s_delay_alu instid0(VALU_DEP_1)
	v_add_nc_u32_e32 v9, 0x48000000, v9
; %bb.5955:                             ;   in Loop: Header=BB1_2 Depth=1
	s_or_b32 exec_lo, exec_lo, s81
.LBB1_5956:                             ;   in Loop: Header=BB1_2 Depth=1
	s_and_not1_saveexec_b32 s80, s80
; %bb.5957:                             ;   in Loop: Header=BB1_2 Depth=1
	s_delay_alu instid0(VALU_DEP_1)
	v_add_nc_u32_e32 v9, 0x4c000000, v9
; %bb.5958:                             ;   in Loop: Header=BB1_2 Depth=1
	s_or_b32 exec_lo, exec_lo, s80
.LBB1_5959:                             ;   in Loop: Header=BB1_2 Depth=1
	s_and_not1_saveexec_b32 s79, s79
; %bb.5960:                             ;   in Loop: Header=BB1_2 Depth=1
	s_delay_alu instid0(VALU_DEP_1)
	v_add_nc_u32_e32 v9, 0x50000000, v9
; %bb.5961:                             ;   in Loop: Header=BB1_2 Depth=1
	s_or_b32 exec_lo, exec_lo, s79
.LBB1_5962:                             ;   in Loop: Header=BB1_2 Depth=1
	s_and_not1_saveexec_b32 s78, s78
; %bb.5963:                             ;   in Loop: Header=BB1_2 Depth=1
	s_delay_alu instid0(VALU_DEP_1)
	v_add_nc_u32_e32 v9, 0x54000000, v9
; %bb.5964:                             ;   in Loop: Header=BB1_2 Depth=1
	s_or_b32 exec_lo, exec_lo, s78
.LBB1_5965:                             ;   in Loop: Header=BB1_2 Depth=1
	s_and_not1_saveexec_b32 s77, s77
; %bb.5966:                             ;   in Loop: Header=BB1_2 Depth=1
	s_delay_alu instid0(VALU_DEP_1)
	v_add_nc_u32_e32 v9, 0x58000000, v9
; %bb.5967:                             ;   in Loop: Header=BB1_2 Depth=1
	s_or_b32 exec_lo, exec_lo, s77
.LBB1_5968:                             ;   in Loop: Header=BB1_2 Depth=1
	s_and_not1_saveexec_b32 s76, s76
; %bb.5969:                             ;   in Loop: Header=BB1_2 Depth=1
	s_delay_alu instid0(VALU_DEP_1)
	v_add_nc_u32_e32 v9, 0x5c000000, v9
; %bb.5970:                             ;   in Loop: Header=BB1_2 Depth=1
	s_or_b32 exec_lo, exec_lo, s76
.LBB1_5971:                             ;   in Loop: Header=BB1_2 Depth=1
	s_and_not1_saveexec_b32 s75, s75
; %bb.5972:                             ;   in Loop: Header=BB1_2 Depth=1
	s_delay_alu instid0(VALU_DEP_1)
	v_add_nc_u32_e32 v9, 0x60000000, v9
; %bb.5973:                             ;   in Loop: Header=BB1_2 Depth=1
	s_or_b32 exec_lo, exec_lo, s75
.LBB1_5974:                             ;   in Loop: Header=BB1_2 Depth=1
	s_and_not1_saveexec_b32 s74, s74
; %bb.5975:                             ;   in Loop: Header=BB1_2 Depth=1
	s_delay_alu instid0(VALU_DEP_1)
	v_add_nc_u32_e32 v9, 0x64000000, v9
; %bb.5976:                             ;   in Loop: Header=BB1_2 Depth=1
	s_or_b32 exec_lo, exec_lo, s74
.LBB1_5977:                             ;   in Loop: Header=BB1_2 Depth=1
	s_and_not1_saveexec_b32 s73, s73
; %bb.5978:                             ;   in Loop: Header=BB1_2 Depth=1
	s_delay_alu instid0(VALU_DEP_1)
	v_add_nc_u32_e32 v9, 0x68000000, v9
; %bb.5979:                             ;   in Loop: Header=BB1_2 Depth=1
	s_or_b32 exec_lo, exec_lo, s73
.LBB1_5980:                             ;   in Loop: Header=BB1_2 Depth=1
	s_and_not1_saveexec_b32 s72, s72
; %bb.5981:                             ;   in Loop: Header=BB1_2 Depth=1
	s_delay_alu instid0(VALU_DEP_1)
	v_add_nc_u32_e32 v9, 0x6c000000, v9
; %bb.5982:                             ;   in Loop: Header=BB1_2 Depth=1
	s_or_b32 exec_lo, exec_lo, s72
.LBB1_5983:                             ;   in Loop: Header=BB1_2 Depth=1
	s_and_not1_saveexec_b32 s35, s35
; %bb.5984:                             ;   in Loop: Header=BB1_2 Depth=1
	s_delay_alu instid0(VALU_DEP_1)
	v_add_nc_u32_e32 v9, 0x70000000, v9
; %bb.5985:                             ;   in Loop: Header=BB1_2 Depth=1
	s_or_b32 exec_lo, exec_lo, s35
.LBB1_5986:                             ;   in Loop: Header=BB1_2 Depth=1
	s_and_not1_saveexec_b32 s34, s34
; %bb.5987:                             ;   in Loop: Header=BB1_2 Depth=1
	s_delay_alu instid0(VALU_DEP_1)
	v_add_nc_u32_e32 v9, 0x74000000, v9
; %bb.5988:                             ;   in Loop: Header=BB1_2 Depth=1
	s_or_b32 exec_lo, exec_lo, s34
.LBB1_5989:                             ;   in Loop: Header=BB1_2 Depth=1
	s_and_not1_saveexec_b32 s33, s33
; %bb.5990:                             ;   in Loop: Header=BB1_2 Depth=1
	s_delay_alu instid0(VALU_DEP_1)
	v_add_nc_u32_e32 v9, 0x78000000, v9
; %bb.5991:                             ;   in Loop: Header=BB1_2 Depth=1
	s_or_b32 exec_lo, exec_lo, s33
.LBB1_5992:                             ;   in Loop: Header=BB1_2 Depth=1
	s_and_not1_saveexec_b32 s31, s31
; %bb.5993:                             ;   in Loop: Header=BB1_2 Depth=1
	s_delay_alu instid0(VALU_DEP_1)
	v_add_nc_u32_e32 v9, 0x7c000000, v9
; %bb.5994:                             ;   in Loop: Header=BB1_2 Depth=1
	s_or_b32 exec_lo, exec_lo, s31
	v_mov_b32_e32 v0, s1
	s_mov_b32 s31, exec_lo
	ds_load_2addr_b64 v[10:13], v0 offset0:168 offset1:169
	ds_load_b64 v[14:15], v0 offset:1360
	s_wait_dscnt 0x1
	v_mul_f64_e32 v[0:1], v[4:5], v[12:13]
	s_delay_alu instid0(VALU_DEP_1)
	v_fmac_f64_e32 v[0:1], v[2:3], v[10:11]
	v_add3_u32 v11, v8, s30, 0x34000
	v_mov_b32_e32 v10, 0x7c
	global_store_b32 v11, v9, s[2:3] scale_offset
	s_wait_dscnt 0x0
	v_fmac_f64_e32 v[0:1], v[6:7], v[14:15]
	s_wait_xcnt 0x0
	s_delay_alu instid0(VALU_DEP_1)
	v_cmpx_ngt_f64_e32 s[28:29], v[0:1]
	s_cbranch_execz .LBB1_6056
; %bb.5995:                             ;   in Loop: Header=BB1_2 Depth=1
	v_mov_b32_e32 v10, 0x78
	s_mov_b32 s33, exec_lo
	v_cmpx_ngt_f64_e32 s[70:71], v[0:1]
	s_cbranch_execz .LBB1_6055
; %bb.5996:                             ;   in Loop: Header=BB1_2 Depth=1
	v_mov_b32_e32 v10, 0x74
	s_mov_b32 s34, exec_lo
	;; [unrolled: 5-line block ×30, first 2 shown]
	v_cmpx_gt_f64_e32 s[52:53], v[0:1]
; %bb.6025:                             ;   in Loop: Header=BB1_2 Depth=1
	v_mov_b32_e32 v10, 4
; %bb.6026:                             ;   in Loop: Header=BB1_2 Depth=1
	s_or_b32 exec_lo, exec_lo, s98
.LBB1_6027:                             ;   in Loop: Header=BB1_2 Depth=1
	s_delay_alu instid0(SALU_CYCLE_1)
	s_or_b32 exec_lo, exec_lo, s97
.LBB1_6028:                             ;   in Loop: Header=BB1_2 Depth=1
	s_delay_alu instid0(SALU_CYCLE_1)
	s_or_b32 exec_lo, exec_lo, s96
.LBB1_6029:                             ;   in Loop: Header=BB1_2 Depth=1
	s_delay_alu instid0(SALU_CYCLE_1)
	s_or_b32 exec_lo, exec_lo, s95
.LBB1_6030:                             ;   in Loop: Header=BB1_2 Depth=1
	s_delay_alu instid0(SALU_CYCLE_1)
	s_or_b32 exec_lo, exec_lo, s94
.LBB1_6031:                             ;   in Loop: Header=BB1_2 Depth=1
	s_delay_alu instid0(SALU_CYCLE_1)
	s_or_b32 exec_lo, exec_lo, s93
.LBB1_6032:                             ;   in Loop: Header=BB1_2 Depth=1
	s_delay_alu instid0(SALU_CYCLE_1)
	s_or_b32 exec_lo, exec_lo, s92
.LBB1_6033:                             ;   in Loop: Header=BB1_2 Depth=1
	s_delay_alu instid0(SALU_CYCLE_1)
	s_or_b32 exec_lo, exec_lo, s91
.LBB1_6034:                             ;   in Loop: Header=BB1_2 Depth=1
	s_delay_alu instid0(SALU_CYCLE_1)
	s_or_b32 exec_lo, exec_lo, s90
.LBB1_6035:                             ;   in Loop: Header=BB1_2 Depth=1
	s_delay_alu instid0(SALU_CYCLE_1)
	s_or_b32 exec_lo, exec_lo, s89
.LBB1_6036:                             ;   in Loop: Header=BB1_2 Depth=1
	s_delay_alu instid0(SALU_CYCLE_1)
	s_or_b32 exec_lo, exec_lo, s88
.LBB1_6037:                             ;   in Loop: Header=BB1_2 Depth=1
	s_delay_alu instid0(SALU_CYCLE_1)
	s_or_b32 exec_lo, exec_lo, s87
.LBB1_6038:                             ;   in Loop: Header=BB1_2 Depth=1
	s_delay_alu instid0(SALU_CYCLE_1)
	s_or_b32 exec_lo, exec_lo, s86
.LBB1_6039:                             ;   in Loop: Header=BB1_2 Depth=1
	s_delay_alu instid0(SALU_CYCLE_1)
	s_or_b32 exec_lo, exec_lo, s85
.LBB1_6040:                             ;   in Loop: Header=BB1_2 Depth=1
	s_delay_alu instid0(SALU_CYCLE_1)
	s_or_b32 exec_lo, exec_lo, s84
.LBB1_6041:                             ;   in Loop: Header=BB1_2 Depth=1
	s_delay_alu instid0(SALU_CYCLE_1)
	s_or_b32 exec_lo, exec_lo, s83
.LBB1_6042:                             ;   in Loop: Header=BB1_2 Depth=1
	s_delay_alu instid0(SALU_CYCLE_1)
	s_or_b32 exec_lo, exec_lo, s82
.LBB1_6043:                             ;   in Loop: Header=BB1_2 Depth=1
	s_delay_alu instid0(SALU_CYCLE_1)
	s_or_b32 exec_lo, exec_lo, s81
.LBB1_6044:                             ;   in Loop: Header=BB1_2 Depth=1
	s_delay_alu instid0(SALU_CYCLE_1)
	s_or_b32 exec_lo, exec_lo, s80
.LBB1_6045:                             ;   in Loop: Header=BB1_2 Depth=1
	s_delay_alu instid0(SALU_CYCLE_1)
	s_or_b32 exec_lo, exec_lo, s79
.LBB1_6046:                             ;   in Loop: Header=BB1_2 Depth=1
	s_delay_alu instid0(SALU_CYCLE_1)
	s_or_b32 exec_lo, exec_lo, s78
.LBB1_6047:                             ;   in Loop: Header=BB1_2 Depth=1
	s_delay_alu instid0(SALU_CYCLE_1)
	s_or_b32 exec_lo, exec_lo, s77
.LBB1_6048:                             ;   in Loop: Header=BB1_2 Depth=1
	s_delay_alu instid0(SALU_CYCLE_1)
	s_or_b32 exec_lo, exec_lo, s76
.LBB1_6049:                             ;   in Loop: Header=BB1_2 Depth=1
	s_delay_alu instid0(SALU_CYCLE_1)
	s_or_b32 exec_lo, exec_lo, s75
.LBB1_6050:                             ;   in Loop: Header=BB1_2 Depth=1
	s_delay_alu instid0(SALU_CYCLE_1)
	s_or_b32 exec_lo, exec_lo, s74
.LBB1_6051:                             ;   in Loop: Header=BB1_2 Depth=1
	s_delay_alu instid0(SALU_CYCLE_1)
	s_or_b32 exec_lo, exec_lo, s73
.LBB1_6052:                             ;   in Loop: Header=BB1_2 Depth=1
	s_delay_alu instid0(SALU_CYCLE_1)
	s_or_b32 exec_lo, exec_lo, s72
.LBB1_6053:                             ;   in Loop: Header=BB1_2 Depth=1
	s_delay_alu instid0(SALU_CYCLE_1)
	s_or_b32 exec_lo, exec_lo, s35
.LBB1_6054:                             ;   in Loop: Header=BB1_2 Depth=1
	s_delay_alu instid0(SALU_CYCLE_1)
	s_or_b32 exec_lo, exec_lo, s34
.LBB1_6055:                             ;   in Loop: Header=BB1_2 Depth=1
	s_delay_alu instid0(SALU_CYCLE_1)
	s_or_b32 exec_lo, exec_lo, s33
.LBB1_6056:                             ;   in Loop: Header=BB1_2 Depth=1
	s_delay_alu instid0(SALU_CYCLE_1)
	s_or_b32 exec_lo, exec_lo, s31
	v_mov_b32_e32 v0, s1
	s_mov_b32 s31, exec_lo
	ds_load_2addr_b64 v[12:15], v0 offset0:171 offset1:172
	ds_load_b64 v[16:17], v0 offset:1384
	s_wait_dscnt 0x1
	v_mul_f64_e32 v[0:1], v[4:5], v[14:15]
	s_delay_alu instid0(VALU_DEP_1) | instskip(SKIP_1) | instid1(VALU_DEP_1)
	v_fmac_f64_e32 v[0:1], v[2:3], v[12:13]
	s_wait_dscnt 0x0
	v_fmac_f64_e32 v[0:1], v[6:7], v[16:17]
	s_delay_alu instid0(VALU_DEP_1)
	v_cmpx_ngt_f64_e32 s[28:29], v[0:1]
	s_xor_b32 s31, exec_lo, s31
	s_cbranch_execz .LBB1_6176
; %bb.6057:                             ;   in Loop: Header=BB1_2 Depth=1
	s_mov_b32 s33, exec_lo
	v_cmpx_ngt_f64_e32 s[70:71], v[0:1]
	s_xor_b32 s33, exec_lo, s33
	s_cbranch_execz .LBB1_6173
; %bb.6058:                             ;   in Loop: Header=BB1_2 Depth=1
	s_mov_b32 s34, exec_lo
	;; [unrolled: 5-line block ×30, first 2 shown]
	v_cmpx_gt_f64_e32 s[52:53], v[0:1]
; %bb.6087:                             ;   in Loop: Header=BB1_2 Depth=1
	v_or_b32_e32 v10, 0x400, v10
; %bb.6088:                             ;   in Loop: Header=BB1_2 Depth=1
	s_or_b32 exec_lo, exec_lo, s98
.LBB1_6089:                             ;   in Loop: Header=BB1_2 Depth=1
	s_and_not1_saveexec_b32 s97, s97
; %bb.6090:                             ;   in Loop: Header=BB1_2 Depth=1
	s_delay_alu instid0(VALU_DEP_1)
	v_or_b32_e32 v10, 0x800, v10
; %bb.6091:                             ;   in Loop: Header=BB1_2 Depth=1
	s_or_b32 exec_lo, exec_lo, s97
.LBB1_6092:                             ;   in Loop: Header=BB1_2 Depth=1
	s_and_not1_saveexec_b32 s96, s96
; %bb.6093:                             ;   in Loop: Header=BB1_2 Depth=1
	s_delay_alu instid0(VALU_DEP_1)
	v_or_b32_e32 v10, 0xc00, v10
; %bb.6094:                             ;   in Loop: Header=BB1_2 Depth=1
	s_or_b32 exec_lo, exec_lo, s96
.LBB1_6095:                             ;   in Loop: Header=BB1_2 Depth=1
	s_and_not1_saveexec_b32 s95, s95
; %bb.6096:                             ;   in Loop: Header=BB1_2 Depth=1
	s_delay_alu instid0(VALU_DEP_1)
	v_or_b32_e32 v10, 0x1000, v10
; %bb.6097:                             ;   in Loop: Header=BB1_2 Depth=1
	s_or_b32 exec_lo, exec_lo, s95
.LBB1_6098:                             ;   in Loop: Header=BB1_2 Depth=1
	s_and_not1_saveexec_b32 s94, s94
; %bb.6099:                             ;   in Loop: Header=BB1_2 Depth=1
	s_delay_alu instid0(VALU_DEP_1)
	v_or_b32_e32 v10, 0x1400, v10
; %bb.6100:                             ;   in Loop: Header=BB1_2 Depth=1
	s_or_b32 exec_lo, exec_lo, s94
.LBB1_6101:                             ;   in Loop: Header=BB1_2 Depth=1
	s_and_not1_saveexec_b32 s93, s93
; %bb.6102:                             ;   in Loop: Header=BB1_2 Depth=1
	s_delay_alu instid0(VALU_DEP_1)
	v_or_b32_e32 v10, 0x1800, v10
; %bb.6103:                             ;   in Loop: Header=BB1_2 Depth=1
	s_or_b32 exec_lo, exec_lo, s93
.LBB1_6104:                             ;   in Loop: Header=BB1_2 Depth=1
	s_and_not1_saveexec_b32 s92, s92
; %bb.6105:                             ;   in Loop: Header=BB1_2 Depth=1
	s_delay_alu instid0(VALU_DEP_1)
	v_or_b32_e32 v10, 0x1c00, v10
; %bb.6106:                             ;   in Loop: Header=BB1_2 Depth=1
	s_or_b32 exec_lo, exec_lo, s92
.LBB1_6107:                             ;   in Loop: Header=BB1_2 Depth=1
	s_and_not1_saveexec_b32 s91, s91
; %bb.6108:                             ;   in Loop: Header=BB1_2 Depth=1
	s_delay_alu instid0(VALU_DEP_1)
	v_or_b32_e32 v10, 0x2000, v10
; %bb.6109:                             ;   in Loop: Header=BB1_2 Depth=1
	s_or_b32 exec_lo, exec_lo, s91
.LBB1_6110:                             ;   in Loop: Header=BB1_2 Depth=1
	s_and_not1_saveexec_b32 s90, s90
; %bb.6111:                             ;   in Loop: Header=BB1_2 Depth=1
	s_delay_alu instid0(VALU_DEP_1)
	v_or_b32_e32 v10, 0x2400, v10
; %bb.6112:                             ;   in Loop: Header=BB1_2 Depth=1
	s_or_b32 exec_lo, exec_lo, s90
.LBB1_6113:                             ;   in Loop: Header=BB1_2 Depth=1
	s_and_not1_saveexec_b32 s89, s89
; %bb.6114:                             ;   in Loop: Header=BB1_2 Depth=1
	s_delay_alu instid0(VALU_DEP_1)
	v_or_b32_e32 v10, 0x2800, v10
; %bb.6115:                             ;   in Loop: Header=BB1_2 Depth=1
	s_or_b32 exec_lo, exec_lo, s89
.LBB1_6116:                             ;   in Loop: Header=BB1_2 Depth=1
	s_and_not1_saveexec_b32 s88, s88
; %bb.6117:                             ;   in Loop: Header=BB1_2 Depth=1
	s_delay_alu instid0(VALU_DEP_1)
	v_or_b32_e32 v10, 0x2c00, v10
; %bb.6118:                             ;   in Loop: Header=BB1_2 Depth=1
	s_or_b32 exec_lo, exec_lo, s88
.LBB1_6119:                             ;   in Loop: Header=BB1_2 Depth=1
	s_and_not1_saveexec_b32 s87, s87
; %bb.6120:                             ;   in Loop: Header=BB1_2 Depth=1
	s_delay_alu instid0(VALU_DEP_1)
	v_or_b32_e32 v10, 0x3000, v10
; %bb.6121:                             ;   in Loop: Header=BB1_2 Depth=1
	s_or_b32 exec_lo, exec_lo, s87
.LBB1_6122:                             ;   in Loop: Header=BB1_2 Depth=1
	s_and_not1_saveexec_b32 s86, s86
; %bb.6123:                             ;   in Loop: Header=BB1_2 Depth=1
	s_delay_alu instid0(VALU_DEP_1)
	v_or_b32_e32 v10, 0x3400, v10
; %bb.6124:                             ;   in Loop: Header=BB1_2 Depth=1
	s_or_b32 exec_lo, exec_lo, s86
.LBB1_6125:                             ;   in Loop: Header=BB1_2 Depth=1
	s_and_not1_saveexec_b32 s85, s85
; %bb.6126:                             ;   in Loop: Header=BB1_2 Depth=1
	s_delay_alu instid0(VALU_DEP_1)
	v_or_b32_e32 v10, 0x3800, v10
; %bb.6127:                             ;   in Loop: Header=BB1_2 Depth=1
	s_or_b32 exec_lo, exec_lo, s85
.LBB1_6128:                             ;   in Loop: Header=BB1_2 Depth=1
	s_and_not1_saveexec_b32 s84, s84
; %bb.6129:                             ;   in Loop: Header=BB1_2 Depth=1
	s_delay_alu instid0(VALU_DEP_1)
	v_or_b32_e32 v10, 0x3c00, v10
; %bb.6130:                             ;   in Loop: Header=BB1_2 Depth=1
	s_or_b32 exec_lo, exec_lo, s84
.LBB1_6131:                             ;   in Loop: Header=BB1_2 Depth=1
	s_and_not1_saveexec_b32 s83, s83
; %bb.6132:                             ;   in Loop: Header=BB1_2 Depth=1
	s_delay_alu instid0(VALU_DEP_1)
	v_or_b32_e32 v10, 0x4000, v10
; %bb.6133:                             ;   in Loop: Header=BB1_2 Depth=1
	s_or_b32 exec_lo, exec_lo, s83
.LBB1_6134:                             ;   in Loop: Header=BB1_2 Depth=1
	s_and_not1_saveexec_b32 s82, s82
; %bb.6135:                             ;   in Loop: Header=BB1_2 Depth=1
	s_delay_alu instid0(VALU_DEP_1)
	v_or_b32_e32 v10, 0x4400, v10
; %bb.6136:                             ;   in Loop: Header=BB1_2 Depth=1
	s_or_b32 exec_lo, exec_lo, s82
.LBB1_6137:                             ;   in Loop: Header=BB1_2 Depth=1
	s_and_not1_saveexec_b32 s81, s81
; %bb.6138:                             ;   in Loop: Header=BB1_2 Depth=1
	s_delay_alu instid0(VALU_DEP_1)
	v_or_b32_e32 v10, 0x4800, v10
; %bb.6139:                             ;   in Loop: Header=BB1_2 Depth=1
	s_or_b32 exec_lo, exec_lo, s81
.LBB1_6140:                             ;   in Loop: Header=BB1_2 Depth=1
	s_and_not1_saveexec_b32 s80, s80
; %bb.6141:                             ;   in Loop: Header=BB1_2 Depth=1
	s_delay_alu instid0(VALU_DEP_1)
	v_or_b32_e32 v10, 0x4c00, v10
; %bb.6142:                             ;   in Loop: Header=BB1_2 Depth=1
	s_or_b32 exec_lo, exec_lo, s80
.LBB1_6143:                             ;   in Loop: Header=BB1_2 Depth=1
	s_and_not1_saveexec_b32 s79, s79
; %bb.6144:                             ;   in Loop: Header=BB1_2 Depth=1
	s_delay_alu instid0(VALU_DEP_1)
	v_or_b32_e32 v10, 0x5000, v10
; %bb.6145:                             ;   in Loop: Header=BB1_2 Depth=1
	s_or_b32 exec_lo, exec_lo, s79
.LBB1_6146:                             ;   in Loop: Header=BB1_2 Depth=1
	s_and_not1_saveexec_b32 s78, s78
; %bb.6147:                             ;   in Loop: Header=BB1_2 Depth=1
	s_delay_alu instid0(VALU_DEP_1)
	v_or_b32_e32 v10, 0x5400, v10
; %bb.6148:                             ;   in Loop: Header=BB1_2 Depth=1
	s_or_b32 exec_lo, exec_lo, s78
.LBB1_6149:                             ;   in Loop: Header=BB1_2 Depth=1
	s_and_not1_saveexec_b32 s77, s77
; %bb.6150:                             ;   in Loop: Header=BB1_2 Depth=1
	s_delay_alu instid0(VALU_DEP_1)
	v_or_b32_e32 v10, 0x5800, v10
; %bb.6151:                             ;   in Loop: Header=BB1_2 Depth=1
	s_or_b32 exec_lo, exec_lo, s77
.LBB1_6152:                             ;   in Loop: Header=BB1_2 Depth=1
	s_and_not1_saveexec_b32 s76, s76
; %bb.6153:                             ;   in Loop: Header=BB1_2 Depth=1
	s_delay_alu instid0(VALU_DEP_1)
	v_or_b32_e32 v10, 0x5c00, v10
; %bb.6154:                             ;   in Loop: Header=BB1_2 Depth=1
	s_or_b32 exec_lo, exec_lo, s76
.LBB1_6155:                             ;   in Loop: Header=BB1_2 Depth=1
	s_and_not1_saveexec_b32 s75, s75
; %bb.6156:                             ;   in Loop: Header=BB1_2 Depth=1
	s_delay_alu instid0(VALU_DEP_1)
	v_or_b32_e32 v10, 0x6000, v10
; %bb.6157:                             ;   in Loop: Header=BB1_2 Depth=1
	s_or_b32 exec_lo, exec_lo, s75
.LBB1_6158:                             ;   in Loop: Header=BB1_2 Depth=1
	s_and_not1_saveexec_b32 s74, s74
; %bb.6159:                             ;   in Loop: Header=BB1_2 Depth=1
	s_delay_alu instid0(VALU_DEP_1)
	v_or_b32_e32 v10, 0x6400, v10
; %bb.6160:                             ;   in Loop: Header=BB1_2 Depth=1
	s_or_b32 exec_lo, exec_lo, s74
.LBB1_6161:                             ;   in Loop: Header=BB1_2 Depth=1
	s_and_not1_saveexec_b32 s73, s73
; %bb.6162:                             ;   in Loop: Header=BB1_2 Depth=1
	s_delay_alu instid0(VALU_DEP_1)
	v_or_b32_e32 v10, 0x6800, v10
; %bb.6163:                             ;   in Loop: Header=BB1_2 Depth=1
	s_or_b32 exec_lo, exec_lo, s73
.LBB1_6164:                             ;   in Loop: Header=BB1_2 Depth=1
	s_and_not1_saveexec_b32 s72, s72
; %bb.6165:                             ;   in Loop: Header=BB1_2 Depth=1
	s_delay_alu instid0(VALU_DEP_1)
	v_or_b32_e32 v10, 0x6c00, v10
; %bb.6166:                             ;   in Loop: Header=BB1_2 Depth=1
	s_or_b32 exec_lo, exec_lo, s72
.LBB1_6167:                             ;   in Loop: Header=BB1_2 Depth=1
	s_and_not1_saveexec_b32 s35, s35
; %bb.6168:                             ;   in Loop: Header=BB1_2 Depth=1
	s_delay_alu instid0(VALU_DEP_1)
	v_or_b32_e32 v10, 0x7000, v10
; %bb.6169:                             ;   in Loop: Header=BB1_2 Depth=1
	s_or_b32 exec_lo, exec_lo, s35
.LBB1_6170:                             ;   in Loop: Header=BB1_2 Depth=1
	s_and_not1_saveexec_b32 s34, s34
; %bb.6171:                             ;   in Loop: Header=BB1_2 Depth=1
	s_delay_alu instid0(VALU_DEP_1)
	v_or_b32_e32 v10, 0x7400, v10
; %bb.6172:                             ;   in Loop: Header=BB1_2 Depth=1
	s_or_b32 exec_lo, exec_lo, s34
.LBB1_6173:                             ;   in Loop: Header=BB1_2 Depth=1
	s_and_not1_saveexec_b32 s33, s33
; %bb.6174:                             ;   in Loop: Header=BB1_2 Depth=1
	s_delay_alu instid0(VALU_DEP_1)
	v_or_b32_e32 v10, 0x7800, v10
; %bb.6175:                             ;   in Loop: Header=BB1_2 Depth=1
	s_or_b32 exec_lo, exec_lo, s33
.LBB1_6176:                             ;   in Loop: Header=BB1_2 Depth=1
	s_and_not1_saveexec_b32 s31, s31
; %bb.6177:                             ;   in Loop: Header=BB1_2 Depth=1
	s_delay_alu instid0(VALU_DEP_1)
	v_or_b32_e32 v10, 0x7c00, v10
; %bb.6178:                             ;   in Loop: Header=BB1_2 Depth=1
	s_or_b32 exec_lo, exec_lo, s31
	v_mov_b32_e32 v0, s1
	s_mov_b32 s31, exec_lo
	ds_load_2addr_b64 v[12:15], v0 offset0:174 offset1:175
	ds_load_b64 v[16:17], v0 offset:1408
	s_wait_dscnt 0x1
	v_mul_f64_e32 v[0:1], v[4:5], v[14:15]
	s_delay_alu instid0(VALU_DEP_1) | instskip(SKIP_1) | instid1(VALU_DEP_1)
	v_fmac_f64_e32 v[0:1], v[2:3], v[12:13]
	s_wait_dscnt 0x0
	v_fmac_f64_e32 v[0:1], v[6:7], v[16:17]
	s_delay_alu instid0(VALU_DEP_1)
	v_cmpx_ngt_f64_e32 s[28:29], v[0:1]
	s_xor_b32 s31, exec_lo, s31
	s_cbranch_execz .LBB1_6298
; %bb.6179:                             ;   in Loop: Header=BB1_2 Depth=1
	s_mov_b32 s33, exec_lo
	v_cmpx_ngt_f64_e32 s[70:71], v[0:1]
	s_xor_b32 s33, exec_lo, s33
	s_cbranch_execz .LBB1_6295
; %bb.6180:                             ;   in Loop: Header=BB1_2 Depth=1
	s_mov_b32 s34, exec_lo
	;; [unrolled: 5-line block ×30, first 2 shown]
	v_cmpx_gt_f64_e32 s[52:53], v[0:1]
; %bb.6209:                             ;   in Loop: Header=BB1_2 Depth=1
	v_add_nc_u32_e32 v10, 0x40000, v10
; %bb.6210:                             ;   in Loop: Header=BB1_2 Depth=1
	s_or_b32 exec_lo, exec_lo, s98
.LBB1_6211:                             ;   in Loop: Header=BB1_2 Depth=1
	s_and_not1_saveexec_b32 s97, s97
; %bb.6212:                             ;   in Loop: Header=BB1_2 Depth=1
	s_delay_alu instid0(VALU_DEP_1)
	v_add_nc_u32_e32 v10, 0x80000, v10
; %bb.6213:                             ;   in Loop: Header=BB1_2 Depth=1
	s_or_b32 exec_lo, exec_lo, s97
.LBB1_6214:                             ;   in Loop: Header=BB1_2 Depth=1
	s_and_not1_saveexec_b32 s96, s96
; %bb.6215:                             ;   in Loop: Header=BB1_2 Depth=1
	s_delay_alu instid0(VALU_DEP_1)
	v_add_nc_u32_e32 v10, 0xc0000, v10
; %bb.6216:                             ;   in Loop: Header=BB1_2 Depth=1
	s_or_b32 exec_lo, exec_lo, s96
.LBB1_6217:                             ;   in Loop: Header=BB1_2 Depth=1
	s_and_not1_saveexec_b32 s95, s95
; %bb.6218:                             ;   in Loop: Header=BB1_2 Depth=1
	s_delay_alu instid0(VALU_DEP_1)
	v_add_nc_u32_e32 v10, 0x100000, v10
; %bb.6219:                             ;   in Loop: Header=BB1_2 Depth=1
	s_or_b32 exec_lo, exec_lo, s95
.LBB1_6220:                             ;   in Loop: Header=BB1_2 Depth=1
	s_and_not1_saveexec_b32 s94, s94
; %bb.6221:                             ;   in Loop: Header=BB1_2 Depth=1
	s_delay_alu instid0(VALU_DEP_1)
	v_add_nc_u32_e32 v10, 0x140000, v10
; %bb.6222:                             ;   in Loop: Header=BB1_2 Depth=1
	s_or_b32 exec_lo, exec_lo, s94
.LBB1_6223:                             ;   in Loop: Header=BB1_2 Depth=1
	s_and_not1_saveexec_b32 s93, s93
; %bb.6224:                             ;   in Loop: Header=BB1_2 Depth=1
	s_delay_alu instid0(VALU_DEP_1)
	v_add_nc_u32_e32 v10, 0x180000, v10
; %bb.6225:                             ;   in Loop: Header=BB1_2 Depth=1
	s_or_b32 exec_lo, exec_lo, s93
.LBB1_6226:                             ;   in Loop: Header=BB1_2 Depth=1
	s_and_not1_saveexec_b32 s92, s92
; %bb.6227:                             ;   in Loop: Header=BB1_2 Depth=1
	s_delay_alu instid0(VALU_DEP_1)
	v_add_nc_u32_e32 v10, 0x1c0000, v10
; %bb.6228:                             ;   in Loop: Header=BB1_2 Depth=1
	s_or_b32 exec_lo, exec_lo, s92
.LBB1_6229:                             ;   in Loop: Header=BB1_2 Depth=1
	s_and_not1_saveexec_b32 s91, s91
; %bb.6230:                             ;   in Loop: Header=BB1_2 Depth=1
	s_delay_alu instid0(VALU_DEP_1)
	v_add_nc_u32_e32 v10, 0x200000, v10
; %bb.6231:                             ;   in Loop: Header=BB1_2 Depth=1
	s_or_b32 exec_lo, exec_lo, s91
.LBB1_6232:                             ;   in Loop: Header=BB1_2 Depth=1
	s_and_not1_saveexec_b32 s90, s90
; %bb.6233:                             ;   in Loop: Header=BB1_2 Depth=1
	s_delay_alu instid0(VALU_DEP_1)
	v_add_nc_u32_e32 v10, 0x240000, v10
; %bb.6234:                             ;   in Loop: Header=BB1_2 Depth=1
	s_or_b32 exec_lo, exec_lo, s90
.LBB1_6235:                             ;   in Loop: Header=BB1_2 Depth=1
	s_and_not1_saveexec_b32 s89, s89
; %bb.6236:                             ;   in Loop: Header=BB1_2 Depth=1
	s_delay_alu instid0(VALU_DEP_1)
	v_add_nc_u32_e32 v10, 0x280000, v10
; %bb.6237:                             ;   in Loop: Header=BB1_2 Depth=1
	s_or_b32 exec_lo, exec_lo, s89
.LBB1_6238:                             ;   in Loop: Header=BB1_2 Depth=1
	s_and_not1_saveexec_b32 s88, s88
; %bb.6239:                             ;   in Loop: Header=BB1_2 Depth=1
	s_delay_alu instid0(VALU_DEP_1)
	v_add_nc_u32_e32 v10, 0x2c0000, v10
; %bb.6240:                             ;   in Loop: Header=BB1_2 Depth=1
	s_or_b32 exec_lo, exec_lo, s88
.LBB1_6241:                             ;   in Loop: Header=BB1_2 Depth=1
	s_and_not1_saveexec_b32 s87, s87
; %bb.6242:                             ;   in Loop: Header=BB1_2 Depth=1
	s_delay_alu instid0(VALU_DEP_1)
	v_add_nc_u32_e32 v10, 0x300000, v10
; %bb.6243:                             ;   in Loop: Header=BB1_2 Depth=1
	s_or_b32 exec_lo, exec_lo, s87
.LBB1_6244:                             ;   in Loop: Header=BB1_2 Depth=1
	s_and_not1_saveexec_b32 s86, s86
; %bb.6245:                             ;   in Loop: Header=BB1_2 Depth=1
	s_delay_alu instid0(VALU_DEP_1)
	v_add_nc_u32_e32 v10, 0x340000, v10
; %bb.6246:                             ;   in Loop: Header=BB1_2 Depth=1
	s_or_b32 exec_lo, exec_lo, s86
.LBB1_6247:                             ;   in Loop: Header=BB1_2 Depth=1
	s_and_not1_saveexec_b32 s85, s85
; %bb.6248:                             ;   in Loop: Header=BB1_2 Depth=1
	s_delay_alu instid0(VALU_DEP_1)
	v_add_nc_u32_e32 v10, 0x380000, v10
; %bb.6249:                             ;   in Loop: Header=BB1_2 Depth=1
	s_or_b32 exec_lo, exec_lo, s85
.LBB1_6250:                             ;   in Loop: Header=BB1_2 Depth=1
	s_and_not1_saveexec_b32 s84, s84
; %bb.6251:                             ;   in Loop: Header=BB1_2 Depth=1
	s_delay_alu instid0(VALU_DEP_1)
	v_add_nc_u32_e32 v10, 0x3c0000, v10
; %bb.6252:                             ;   in Loop: Header=BB1_2 Depth=1
	s_or_b32 exec_lo, exec_lo, s84
.LBB1_6253:                             ;   in Loop: Header=BB1_2 Depth=1
	s_and_not1_saveexec_b32 s83, s83
; %bb.6254:                             ;   in Loop: Header=BB1_2 Depth=1
	s_delay_alu instid0(VALU_DEP_1)
	v_add_nc_u32_e32 v10, 0x400000, v10
; %bb.6255:                             ;   in Loop: Header=BB1_2 Depth=1
	s_or_b32 exec_lo, exec_lo, s83
.LBB1_6256:                             ;   in Loop: Header=BB1_2 Depth=1
	s_and_not1_saveexec_b32 s82, s82
; %bb.6257:                             ;   in Loop: Header=BB1_2 Depth=1
	s_delay_alu instid0(VALU_DEP_1)
	v_add_nc_u32_e32 v10, 0x440000, v10
; %bb.6258:                             ;   in Loop: Header=BB1_2 Depth=1
	s_or_b32 exec_lo, exec_lo, s82
.LBB1_6259:                             ;   in Loop: Header=BB1_2 Depth=1
	s_and_not1_saveexec_b32 s81, s81
; %bb.6260:                             ;   in Loop: Header=BB1_2 Depth=1
	s_delay_alu instid0(VALU_DEP_1)
	v_add_nc_u32_e32 v10, 0x480000, v10
; %bb.6261:                             ;   in Loop: Header=BB1_2 Depth=1
	s_or_b32 exec_lo, exec_lo, s81
.LBB1_6262:                             ;   in Loop: Header=BB1_2 Depth=1
	s_and_not1_saveexec_b32 s80, s80
; %bb.6263:                             ;   in Loop: Header=BB1_2 Depth=1
	s_delay_alu instid0(VALU_DEP_1)
	v_add_nc_u32_e32 v10, 0x4c0000, v10
; %bb.6264:                             ;   in Loop: Header=BB1_2 Depth=1
	s_or_b32 exec_lo, exec_lo, s80
.LBB1_6265:                             ;   in Loop: Header=BB1_2 Depth=1
	s_and_not1_saveexec_b32 s79, s79
; %bb.6266:                             ;   in Loop: Header=BB1_2 Depth=1
	s_delay_alu instid0(VALU_DEP_1)
	v_add_nc_u32_e32 v10, 0x500000, v10
; %bb.6267:                             ;   in Loop: Header=BB1_2 Depth=1
	s_or_b32 exec_lo, exec_lo, s79
.LBB1_6268:                             ;   in Loop: Header=BB1_2 Depth=1
	s_and_not1_saveexec_b32 s78, s78
; %bb.6269:                             ;   in Loop: Header=BB1_2 Depth=1
	s_delay_alu instid0(VALU_DEP_1)
	v_add_nc_u32_e32 v10, 0x540000, v10
; %bb.6270:                             ;   in Loop: Header=BB1_2 Depth=1
	s_or_b32 exec_lo, exec_lo, s78
.LBB1_6271:                             ;   in Loop: Header=BB1_2 Depth=1
	s_and_not1_saveexec_b32 s77, s77
; %bb.6272:                             ;   in Loop: Header=BB1_2 Depth=1
	s_delay_alu instid0(VALU_DEP_1)
	v_add_nc_u32_e32 v10, 0x580000, v10
; %bb.6273:                             ;   in Loop: Header=BB1_2 Depth=1
	s_or_b32 exec_lo, exec_lo, s77
.LBB1_6274:                             ;   in Loop: Header=BB1_2 Depth=1
	s_and_not1_saveexec_b32 s76, s76
; %bb.6275:                             ;   in Loop: Header=BB1_2 Depth=1
	s_delay_alu instid0(VALU_DEP_1)
	v_add_nc_u32_e32 v10, 0x5c0000, v10
; %bb.6276:                             ;   in Loop: Header=BB1_2 Depth=1
	s_or_b32 exec_lo, exec_lo, s76
.LBB1_6277:                             ;   in Loop: Header=BB1_2 Depth=1
	s_and_not1_saveexec_b32 s75, s75
; %bb.6278:                             ;   in Loop: Header=BB1_2 Depth=1
	s_delay_alu instid0(VALU_DEP_1)
	v_add_nc_u32_e32 v10, 0x600000, v10
; %bb.6279:                             ;   in Loop: Header=BB1_2 Depth=1
	s_or_b32 exec_lo, exec_lo, s75
.LBB1_6280:                             ;   in Loop: Header=BB1_2 Depth=1
	s_and_not1_saveexec_b32 s74, s74
; %bb.6281:                             ;   in Loop: Header=BB1_2 Depth=1
	s_delay_alu instid0(VALU_DEP_1)
	v_add_nc_u32_e32 v10, 0x640000, v10
; %bb.6282:                             ;   in Loop: Header=BB1_2 Depth=1
	s_or_b32 exec_lo, exec_lo, s74
.LBB1_6283:                             ;   in Loop: Header=BB1_2 Depth=1
	s_and_not1_saveexec_b32 s73, s73
; %bb.6284:                             ;   in Loop: Header=BB1_2 Depth=1
	s_delay_alu instid0(VALU_DEP_1)
	v_add_nc_u32_e32 v10, 0x680000, v10
; %bb.6285:                             ;   in Loop: Header=BB1_2 Depth=1
	s_or_b32 exec_lo, exec_lo, s73
.LBB1_6286:                             ;   in Loop: Header=BB1_2 Depth=1
	s_and_not1_saveexec_b32 s72, s72
; %bb.6287:                             ;   in Loop: Header=BB1_2 Depth=1
	s_delay_alu instid0(VALU_DEP_1)
	v_add_nc_u32_e32 v10, 0x6c0000, v10
; %bb.6288:                             ;   in Loop: Header=BB1_2 Depth=1
	s_or_b32 exec_lo, exec_lo, s72
.LBB1_6289:                             ;   in Loop: Header=BB1_2 Depth=1
	s_and_not1_saveexec_b32 s35, s35
; %bb.6290:                             ;   in Loop: Header=BB1_2 Depth=1
	s_delay_alu instid0(VALU_DEP_1)
	v_add_nc_u32_e32 v10, 0x700000, v10
; %bb.6291:                             ;   in Loop: Header=BB1_2 Depth=1
	s_or_b32 exec_lo, exec_lo, s35
.LBB1_6292:                             ;   in Loop: Header=BB1_2 Depth=1
	s_and_not1_saveexec_b32 s34, s34
; %bb.6293:                             ;   in Loop: Header=BB1_2 Depth=1
	s_delay_alu instid0(VALU_DEP_1)
	v_add_nc_u32_e32 v10, 0x740000, v10
; %bb.6294:                             ;   in Loop: Header=BB1_2 Depth=1
	s_or_b32 exec_lo, exec_lo, s34
.LBB1_6295:                             ;   in Loop: Header=BB1_2 Depth=1
	s_and_not1_saveexec_b32 s33, s33
; %bb.6296:                             ;   in Loop: Header=BB1_2 Depth=1
	s_delay_alu instid0(VALU_DEP_1)
	v_add_nc_u32_e32 v10, 0x780000, v10
; %bb.6297:                             ;   in Loop: Header=BB1_2 Depth=1
	s_or_b32 exec_lo, exec_lo, s33
.LBB1_6298:                             ;   in Loop: Header=BB1_2 Depth=1
	s_and_not1_saveexec_b32 s31, s31
; %bb.6299:                             ;   in Loop: Header=BB1_2 Depth=1
	s_delay_alu instid0(VALU_DEP_1)
	v_add_nc_u32_e32 v10, 0x7c0000, v10
; %bb.6300:                             ;   in Loop: Header=BB1_2 Depth=1
	s_or_b32 exec_lo, exec_lo, s31
	v_mov_b32_e32 v0, s1
	s_mov_b32 s31, exec_lo
	ds_load_2addr_b64 v[12:15], v0 offset0:177 offset1:178
	ds_load_b64 v[16:17], v0 offset:1432
	s_wait_dscnt 0x1
	v_mul_f64_e32 v[0:1], v[4:5], v[14:15]
	s_delay_alu instid0(VALU_DEP_1) | instskip(SKIP_1) | instid1(VALU_DEP_1)
	v_fmac_f64_e32 v[0:1], v[2:3], v[12:13]
	s_wait_dscnt 0x0
	v_fmac_f64_e32 v[0:1], v[6:7], v[16:17]
	s_delay_alu instid0(VALU_DEP_1)
	v_cmpx_ngt_f64_e32 s[28:29], v[0:1]
	s_xor_b32 s31, exec_lo, s31
	s_cbranch_execz .LBB1_6420
; %bb.6301:                             ;   in Loop: Header=BB1_2 Depth=1
	s_mov_b32 s33, exec_lo
	v_cmpx_ngt_f64_e32 s[70:71], v[0:1]
	s_xor_b32 s33, exec_lo, s33
	s_cbranch_execz .LBB1_6417
; %bb.6302:                             ;   in Loop: Header=BB1_2 Depth=1
	s_mov_b32 s34, exec_lo
	;; [unrolled: 5-line block ×30, first 2 shown]
	v_cmpx_gt_f64_e32 s[52:53], v[0:1]
; %bb.6331:                             ;   in Loop: Header=BB1_2 Depth=1
	v_add_nc_u32_e32 v10, 0x4000000, v10
; %bb.6332:                             ;   in Loop: Header=BB1_2 Depth=1
	s_or_b32 exec_lo, exec_lo, s98
.LBB1_6333:                             ;   in Loop: Header=BB1_2 Depth=1
	s_and_not1_saveexec_b32 s97, s97
; %bb.6334:                             ;   in Loop: Header=BB1_2 Depth=1
	s_delay_alu instid0(VALU_DEP_1)
	v_add_nc_u32_e32 v10, 0x8000000, v10
; %bb.6335:                             ;   in Loop: Header=BB1_2 Depth=1
	s_or_b32 exec_lo, exec_lo, s97
.LBB1_6336:                             ;   in Loop: Header=BB1_2 Depth=1
	s_and_not1_saveexec_b32 s96, s96
; %bb.6337:                             ;   in Loop: Header=BB1_2 Depth=1
	s_delay_alu instid0(VALU_DEP_1)
	v_add_nc_u32_e32 v10, 0xc000000, v10
; %bb.6338:                             ;   in Loop: Header=BB1_2 Depth=1
	s_or_b32 exec_lo, exec_lo, s96
.LBB1_6339:                             ;   in Loop: Header=BB1_2 Depth=1
	s_and_not1_saveexec_b32 s95, s95
; %bb.6340:                             ;   in Loop: Header=BB1_2 Depth=1
	s_delay_alu instid0(VALU_DEP_1)
	v_add_nc_u32_e32 v10, 0x10000000, v10
; %bb.6341:                             ;   in Loop: Header=BB1_2 Depth=1
	s_or_b32 exec_lo, exec_lo, s95
.LBB1_6342:                             ;   in Loop: Header=BB1_2 Depth=1
	s_and_not1_saveexec_b32 s94, s94
; %bb.6343:                             ;   in Loop: Header=BB1_2 Depth=1
	s_delay_alu instid0(VALU_DEP_1)
	v_add_nc_u32_e32 v10, 0x14000000, v10
; %bb.6344:                             ;   in Loop: Header=BB1_2 Depth=1
	s_or_b32 exec_lo, exec_lo, s94
.LBB1_6345:                             ;   in Loop: Header=BB1_2 Depth=1
	s_and_not1_saveexec_b32 s93, s93
; %bb.6346:                             ;   in Loop: Header=BB1_2 Depth=1
	s_delay_alu instid0(VALU_DEP_1)
	v_add_nc_u32_e32 v10, 0x18000000, v10
; %bb.6347:                             ;   in Loop: Header=BB1_2 Depth=1
	s_or_b32 exec_lo, exec_lo, s93
.LBB1_6348:                             ;   in Loop: Header=BB1_2 Depth=1
	s_and_not1_saveexec_b32 s92, s92
; %bb.6349:                             ;   in Loop: Header=BB1_2 Depth=1
	s_delay_alu instid0(VALU_DEP_1)
	v_add_nc_u32_e32 v10, 0x1c000000, v10
; %bb.6350:                             ;   in Loop: Header=BB1_2 Depth=1
	s_or_b32 exec_lo, exec_lo, s92
.LBB1_6351:                             ;   in Loop: Header=BB1_2 Depth=1
	s_and_not1_saveexec_b32 s91, s91
; %bb.6352:                             ;   in Loop: Header=BB1_2 Depth=1
	s_delay_alu instid0(VALU_DEP_1)
	v_add_nc_u32_e32 v10, 0x20000000, v10
; %bb.6353:                             ;   in Loop: Header=BB1_2 Depth=1
	s_or_b32 exec_lo, exec_lo, s91
.LBB1_6354:                             ;   in Loop: Header=BB1_2 Depth=1
	s_and_not1_saveexec_b32 s90, s90
; %bb.6355:                             ;   in Loop: Header=BB1_2 Depth=1
	s_delay_alu instid0(VALU_DEP_1)
	v_add_nc_u32_e32 v10, 0x24000000, v10
; %bb.6356:                             ;   in Loop: Header=BB1_2 Depth=1
	s_or_b32 exec_lo, exec_lo, s90
.LBB1_6357:                             ;   in Loop: Header=BB1_2 Depth=1
	s_and_not1_saveexec_b32 s89, s89
; %bb.6358:                             ;   in Loop: Header=BB1_2 Depth=1
	s_delay_alu instid0(VALU_DEP_1)
	v_add_nc_u32_e32 v10, 0x28000000, v10
; %bb.6359:                             ;   in Loop: Header=BB1_2 Depth=1
	s_or_b32 exec_lo, exec_lo, s89
.LBB1_6360:                             ;   in Loop: Header=BB1_2 Depth=1
	s_and_not1_saveexec_b32 s88, s88
; %bb.6361:                             ;   in Loop: Header=BB1_2 Depth=1
	s_delay_alu instid0(VALU_DEP_1)
	v_add_nc_u32_e32 v10, 0x2c000000, v10
; %bb.6362:                             ;   in Loop: Header=BB1_2 Depth=1
	s_or_b32 exec_lo, exec_lo, s88
.LBB1_6363:                             ;   in Loop: Header=BB1_2 Depth=1
	s_and_not1_saveexec_b32 s87, s87
; %bb.6364:                             ;   in Loop: Header=BB1_2 Depth=1
	s_delay_alu instid0(VALU_DEP_1)
	v_add_nc_u32_e32 v10, 0x30000000, v10
; %bb.6365:                             ;   in Loop: Header=BB1_2 Depth=1
	s_or_b32 exec_lo, exec_lo, s87
.LBB1_6366:                             ;   in Loop: Header=BB1_2 Depth=1
	s_and_not1_saveexec_b32 s86, s86
; %bb.6367:                             ;   in Loop: Header=BB1_2 Depth=1
	s_delay_alu instid0(VALU_DEP_1)
	v_add_nc_u32_e32 v10, 0x34000000, v10
; %bb.6368:                             ;   in Loop: Header=BB1_2 Depth=1
	s_or_b32 exec_lo, exec_lo, s86
.LBB1_6369:                             ;   in Loop: Header=BB1_2 Depth=1
	s_and_not1_saveexec_b32 s85, s85
; %bb.6370:                             ;   in Loop: Header=BB1_2 Depth=1
	s_delay_alu instid0(VALU_DEP_1)
	v_add_nc_u32_e32 v10, 0x38000000, v10
; %bb.6371:                             ;   in Loop: Header=BB1_2 Depth=1
	s_or_b32 exec_lo, exec_lo, s85
.LBB1_6372:                             ;   in Loop: Header=BB1_2 Depth=1
	s_and_not1_saveexec_b32 s84, s84
; %bb.6373:                             ;   in Loop: Header=BB1_2 Depth=1
	s_delay_alu instid0(VALU_DEP_1)
	v_add_nc_u32_e32 v10, 0x3c000000, v10
; %bb.6374:                             ;   in Loop: Header=BB1_2 Depth=1
	s_or_b32 exec_lo, exec_lo, s84
.LBB1_6375:                             ;   in Loop: Header=BB1_2 Depth=1
	s_and_not1_saveexec_b32 s83, s83
; %bb.6376:                             ;   in Loop: Header=BB1_2 Depth=1
	s_delay_alu instid0(VALU_DEP_1)
	v_add_nc_u32_e32 v10, 2.0, v10
; %bb.6377:                             ;   in Loop: Header=BB1_2 Depth=1
	s_or_b32 exec_lo, exec_lo, s83
.LBB1_6378:                             ;   in Loop: Header=BB1_2 Depth=1
	s_and_not1_saveexec_b32 s82, s82
; %bb.6379:                             ;   in Loop: Header=BB1_2 Depth=1
	s_delay_alu instid0(VALU_DEP_1)
	v_add_nc_u32_e32 v10, 0x44000000, v10
; %bb.6380:                             ;   in Loop: Header=BB1_2 Depth=1
	s_or_b32 exec_lo, exec_lo, s82
.LBB1_6381:                             ;   in Loop: Header=BB1_2 Depth=1
	s_and_not1_saveexec_b32 s81, s81
; %bb.6382:                             ;   in Loop: Header=BB1_2 Depth=1
	s_delay_alu instid0(VALU_DEP_1)
	v_add_nc_u32_e32 v10, 0x48000000, v10
; %bb.6383:                             ;   in Loop: Header=BB1_2 Depth=1
	s_or_b32 exec_lo, exec_lo, s81
.LBB1_6384:                             ;   in Loop: Header=BB1_2 Depth=1
	s_and_not1_saveexec_b32 s80, s80
; %bb.6385:                             ;   in Loop: Header=BB1_2 Depth=1
	s_delay_alu instid0(VALU_DEP_1)
	v_add_nc_u32_e32 v10, 0x4c000000, v10
; %bb.6386:                             ;   in Loop: Header=BB1_2 Depth=1
	s_or_b32 exec_lo, exec_lo, s80
.LBB1_6387:                             ;   in Loop: Header=BB1_2 Depth=1
	s_and_not1_saveexec_b32 s79, s79
; %bb.6388:                             ;   in Loop: Header=BB1_2 Depth=1
	s_delay_alu instid0(VALU_DEP_1)
	v_add_nc_u32_e32 v10, 0x50000000, v10
; %bb.6389:                             ;   in Loop: Header=BB1_2 Depth=1
	s_or_b32 exec_lo, exec_lo, s79
.LBB1_6390:                             ;   in Loop: Header=BB1_2 Depth=1
	s_and_not1_saveexec_b32 s78, s78
; %bb.6391:                             ;   in Loop: Header=BB1_2 Depth=1
	s_delay_alu instid0(VALU_DEP_1)
	v_add_nc_u32_e32 v10, 0x54000000, v10
; %bb.6392:                             ;   in Loop: Header=BB1_2 Depth=1
	s_or_b32 exec_lo, exec_lo, s78
.LBB1_6393:                             ;   in Loop: Header=BB1_2 Depth=1
	s_and_not1_saveexec_b32 s77, s77
; %bb.6394:                             ;   in Loop: Header=BB1_2 Depth=1
	s_delay_alu instid0(VALU_DEP_1)
	v_add_nc_u32_e32 v10, 0x58000000, v10
; %bb.6395:                             ;   in Loop: Header=BB1_2 Depth=1
	s_or_b32 exec_lo, exec_lo, s77
.LBB1_6396:                             ;   in Loop: Header=BB1_2 Depth=1
	s_and_not1_saveexec_b32 s76, s76
; %bb.6397:                             ;   in Loop: Header=BB1_2 Depth=1
	s_delay_alu instid0(VALU_DEP_1)
	v_add_nc_u32_e32 v10, 0x5c000000, v10
; %bb.6398:                             ;   in Loop: Header=BB1_2 Depth=1
	s_or_b32 exec_lo, exec_lo, s76
.LBB1_6399:                             ;   in Loop: Header=BB1_2 Depth=1
	s_and_not1_saveexec_b32 s75, s75
; %bb.6400:                             ;   in Loop: Header=BB1_2 Depth=1
	s_delay_alu instid0(VALU_DEP_1)
	v_add_nc_u32_e32 v10, 0x60000000, v10
; %bb.6401:                             ;   in Loop: Header=BB1_2 Depth=1
	s_or_b32 exec_lo, exec_lo, s75
.LBB1_6402:                             ;   in Loop: Header=BB1_2 Depth=1
	s_and_not1_saveexec_b32 s74, s74
; %bb.6403:                             ;   in Loop: Header=BB1_2 Depth=1
	s_delay_alu instid0(VALU_DEP_1)
	v_add_nc_u32_e32 v10, 0x64000000, v10
; %bb.6404:                             ;   in Loop: Header=BB1_2 Depth=1
	s_or_b32 exec_lo, exec_lo, s74
.LBB1_6405:                             ;   in Loop: Header=BB1_2 Depth=1
	s_and_not1_saveexec_b32 s73, s73
; %bb.6406:                             ;   in Loop: Header=BB1_2 Depth=1
	s_delay_alu instid0(VALU_DEP_1)
	v_add_nc_u32_e32 v10, 0x68000000, v10
; %bb.6407:                             ;   in Loop: Header=BB1_2 Depth=1
	s_or_b32 exec_lo, exec_lo, s73
.LBB1_6408:                             ;   in Loop: Header=BB1_2 Depth=1
	s_and_not1_saveexec_b32 s72, s72
; %bb.6409:                             ;   in Loop: Header=BB1_2 Depth=1
	s_delay_alu instid0(VALU_DEP_1)
	v_add_nc_u32_e32 v10, 0x6c000000, v10
; %bb.6410:                             ;   in Loop: Header=BB1_2 Depth=1
	s_or_b32 exec_lo, exec_lo, s72
.LBB1_6411:                             ;   in Loop: Header=BB1_2 Depth=1
	s_and_not1_saveexec_b32 s35, s35
; %bb.6412:                             ;   in Loop: Header=BB1_2 Depth=1
	s_delay_alu instid0(VALU_DEP_1)
	v_add_nc_u32_e32 v10, 0x70000000, v10
; %bb.6413:                             ;   in Loop: Header=BB1_2 Depth=1
	s_or_b32 exec_lo, exec_lo, s35
.LBB1_6414:                             ;   in Loop: Header=BB1_2 Depth=1
	s_and_not1_saveexec_b32 s34, s34
; %bb.6415:                             ;   in Loop: Header=BB1_2 Depth=1
	s_delay_alu instid0(VALU_DEP_1)
	v_add_nc_u32_e32 v10, 0x74000000, v10
; %bb.6416:                             ;   in Loop: Header=BB1_2 Depth=1
	s_or_b32 exec_lo, exec_lo, s34
.LBB1_6417:                             ;   in Loop: Header=BB1_2 Depth=1
	s_and_not1_saveexec_b32 s33, s33
; %bb.6418:                             ;   in Loop: Header=BB1_2 Depth=1
	s_delay_alu instid0(VALU_DEP_1)
	v_add_nc_u32_e32 v10, 0x78000000, v10
; %bb.6419:                             ;   in Loop: Header=BB1_2 Depth=1
	s_or_b32 exec_lo, exec_lo, s33
.LBB1_6420:                             ;   in Loop: Header=BB1_2 Depth=1
	s_and_not1_saveexec_b32 s31, s31
; %bb.6421:                             ;   in Loop: Header=BB1_2 Depth=1
	s_delay_alu instid0(VALU_DEP_1)
	v_add_nc_u32_e32 v10, 0x7c000000, v10
; %bb.6422:                             ;   in Loop: Header=BB1_2 Depth=1
	s_or_b32 exec_lo, exec_lo, s31
	v_dual_mov_b32 v0, s1 :: v_dual_mov_b32 v9, 0x7c
	v_add3_u32 v11, v8, s30, 0x38000
	s_mov_b32 s30, exec_lo
	ds_load_2addr_b64 v[12:15], v0 offset0:180 offset1:181
	ds_load_b64 v[16:17], v0 offset:1456
	global_store_b32 v11, v10, s[2:3] scale_offset
	s_wait_dscnt 0x1
	v_mul_f64_e32 v[0:1], v[4:5], v[14:15]
	s_delay_alu instid0(VALU_DEP_1) | instskip(SKIP_1) | instid1(VALU_DEP_1)
	v_fmac_f64_e32 v[0:1], v[2:3], v[12:13]
	s_wait_dscnt 0x0
	v_fmac_f64_e32 v[0:1], v[6:7], v[16:17]
	s_wait_xcnt 0x0
	s_delay_alu instid0(VALU_DEP_1)
	v_cmpx_ngt_f64_e32 s[28:29], v[0:1]
	s_cbranch_execz .LBB1_6484
; %bb.6423:                             ;   in Loop: Header=BB1_2 Depth=1
	v_mov_b32_e32 v9, 0x78
	s_mov_b32 s31, exec_lo
	v_cmpx_ngt_f64_e32 s[70:71], v[0:1]
	s_cbranch_execz .LBB1_6483
; %bb.6424:                             ;   in Loop: Header=BB1_2 Depth=1
	v_mov_b32_e32 v9, 0x74
	s_mov_b32 s33, exec_lo
	;; [unrolled: 5-line block ×30, first 2 shown]
	v_cmpx_gt_f64_e32 s[52:53], v[0:1]
; %bb.6453:                             ;   in Loop: Header=BB1_2 Depth=1
	v_mov_b32_e32 v9, 4
; %bb.6454:                             ;   in Loop: Header=BB1_2 Depth=1
	s_or_b32 exec_lo, exec_lo, s97
.LBB1_6455:                             ;   in Loop: Header=BB1_2 Depth=1
	s_delay_alu instid0(SALU_CYCLE_1)
	s_or_b32 exec_lo, exec_lo, s96
.LBB1_6456:                             ;   in Loop: Header=BB1_2 Depth=1
	s_delay_alu instid0(SALU_CYCLE_1)
	s_or_b32 exec_lo, exec_lo, s95
.LBB1_6457:                             ;   in Loop: Header=BB1_2 Depth=1
	s_delay_alu instid0(SALU_CYCLE_1)
	s_or_b32 exec_lo, exec_lo, s94
.LBB1_6458:                             ;   in Loop: Header=BB1_2 Depth=1
	s_delay_alu instid0(SALU_CYCLE_1)
	s_or_b32 exec_lo, exec_lo, s93
.LBB1_6459:                             ;   in Loop: Header=BB1_2 Depth=1
	s_delay_alu instid0(SALU_CYCLE_1)
	s_or_b32 exec_lo, exec_lo, s92
.LBB1_6460:                             ;   in Loop: Header=BB1_2 Depth=1
	s_delay_alu instid0(SALU_CYCLE_1)
	s_or_b32 exec_lo, exec_lo, s91
.LBB1_6461:                             ;   in Loop: Header=BB1_2 Depth=1
	s_delay_alu instid0(SALU_CYCLE_1)
	s_or_b32 exec_lo, exec_lo, s90
.LBB1_6462:                             ;   in Loop: Header=BB1_2 Depth=1
	s_delay_alu instid0(SALU_CYCLE_1)
	s_or_b32 exec_lo, exec_lo, s89
.LBB1_6463:                             ;   in Loop: Header=BB1_2 Depth=1
	s_delay_alu instid0(SALU_CYCLE_1)
	s_or_b32 exec_lo, exec_lo, s88
.LBB1_6464:                             ;   in Loop: Header=BB1_2 Depth=1
	s_delay_alu instid0(SALU_CYCLE_1)
	s_or_b32 exec_lo, exec_lo, s87
.LBB1_6465:                             ;   in Loop: Header=BB1_2 Depth=1
	s_delay_alu instid0(SALU_CYCLE_1)
	s_or_b32 exec_lo, exec_lo, s86
.LBB1_6466:                             ;   in Loop: Header=BB1_2 Depth=1
	s_delay_alu instid0(SALU_CYCLE_1)
	s_or_b32 exec_lo, exec_lo, s85
.LBB1_6467:                             ;   in Loop: Header=BB1_2 Depth=1
	s_delay_alu instid0(SALU_CYCLE_1)
	s_or_b32 exec_lo, exec_lo, s84
.LBB1_6468:                             ;   in Loop: Header=BB1_2 Depth=1
	s_delay_alu instid0(SALU_CYCLE_1)
	s_or_b32 exec_lo, exec_lo, s83
.LBB1_6469:                             ;   in Loop: Header=BB1_2 Depth=1
	s_delay_alu instid0(SALU_CYCLE_1)
	s_or_b32 exec_lo, exec_lo, s82
.LBB1_6470:                             ;   in Loop: Header=BB1_2 Depth=1
	s_delay_alu instid0(SALU_CYCLE_1)
	s_or_b32 exec_lo, exec_lo, s81
.LBB1_6471:                             ;   in Loop: Header=BB1_2 Depth=1
	s_delay_alu instid0(SALU_CYCLE_1)
	s_or_b32 exec_lo, exec_lo, s80
.LBB1_6472:                             ;   in Loop: Header=BB1_2 Depth=1
	s_delay_alu instid0(SALU_CYCLE_1)
	s_or_b32 exec_lo, exec_lo, s79
.LBB1_6473:                             ;   in Loop: Header=BB1_2 Depth=1
	s_delay_alu instid0(SALU_CYCLE_1)
	s_or_b32 exec_lo, exec_lo, s78
.LBB1_6474:                             ;   in Loop: Header=BB1_2 Depth=1
	s_delay_alu instid0(SALU_CYCLE_1)
	s_or_b32 exec_lo, exec_lo, s77
.LBB1_6475:                             ;   in Loop: Header=BB1_2 Depth=1
	s_delay_alu instid0(SALU_CYCLE_1)
	s_or_b32 exec_lo, exec_lo, s76
.LBB1_6476:                             ;   in Loop: Header=BB1_2 Depth=1
	s_delay_alu instid0(SALU_CYCLE_1)
	s_or_b32 exec_lo, exec_lo, s75
.LBB1_6477:                             ;   in Loop: Header=BB1_2 Depth=1
	s_delay_alu instid0(SALU_CYCLE_1)
	s_or_b32 exec_lo, exec_lo, s74
.LBB1_6478:                             ;   in Loop: Header=BB1_2 Depth=1
	s_delay_alu instid0(SALU_CYCLE_1)
	s_or_b32 exec_lo, exec_lo, s73
.LBB1_6479:                             ;   in Loop: Header=BB1_2 Depth=1
	s_delay_alu instid0(SALU_CYCLE_1)
	s_or_b32 exec_lo, exec_lo, s72
.LBB1_6480:                             ;   in Loop: Header=BB1_2 Depth=1
	s_delay_alu instid0(SALU_CYCLE_1)
	s_or_b32 exec_lo, exec_lo, s35
.LBB1_6481:                             ;   in Loop: Header=BB1_2 Depth=1
	s_delay_alu instid0(SALU_CYCLE_1)
	s_or_b32 exec_lo, exec_lo, s34
.LBB1_6482:                             ;   in Loop: Header=BB1_2 Depth=1
	s_delay_alu instid0(SALU_CYCLE_1)
	s_or_b32 exec_lo, exec_lo, s33
.LBB1_6483:                             ;   in Loop: Header=BB1_2 Depth=1
	s_delay_alu instid0(SALU_CYCLE_1)
	s_or_b32 exec_lo, exec_lo, s31
.LBB1_6484:                             ;   in Loop: Header=BB1_2 Depth=1
	s_delay_alu instid0(SALU_CYCLE_1)
	s_or_b32 exec_lo, exec_lo, s30
	v_mov_b32_e32 v0, s1
	s_mov_b32 s30, exec_lo
	ds_load_2addr_b64 v[10:13], v0 offset0:183 offset1:184
	ds_load_b64 v[14:15], v0 offset:1480
	s_wait_dscnt 0x1
	v_mul_f64_e32 v[0:1], v[4:5], v[12:13]
	s_delay_alu instid0(VALU_DEP_1) | instskip(SKIP_1) | instid1(VALU_DEP_1)
	v_fmac_f64_e32 v[0:1], v[2:3], v[10:11]
	s_wait_dscnt 0x0
	v_fmac_f64_e32 v[0:1], v[6:7], v[14:15]
	s_delay_alu instid0(VALU_DEP_1)
	v_cmpx_ngt_f64_e32 s[28:29], v[0:1]
	s_xor_b32 s30, exec_lo, s30
	s_cbranch_execz .LBB1_6604
; %bb.6485:                             ;   in Loop: Header=BB1_2 Depth=1
	s_mov_b32 s31, exec_lo
	v_cmpx_ngt_f64_e32 s[70:71], v[0:1]
	s_xor_b32 s31, exec_lo, s31
	s_cbranch_execz .LBB1_6601
; %bb.6486:                             ;   in Loop: Header=BB1_2 Depth=1
	s_mov_b32 s33, exec_lo
	;; [unrolled: 5-line block ×30, first 2 shown]
	v_cmpx_gt_f64_e32 s[52:53], v[0:1]
; %bb.6515:                             ;   in Loop: Header=BB1_2 Depth=1
	v_or_b32_e32 v9, 0x400, v9
; %bb.6516:                             ;   in Loop: Header=BB1_2 Depth=1
	s_or_b32 exec_lo, exec_lo, s97
.LBB1_6517:                             ;   in Loop: Header=BB1_2 Depth=1
	s_and_not1_saveexec_b32 s96, s96
; %bb.6518:                             ;   in Loop: Header=BB1_2 Depth=1
	s_delay_alu instid0(VALU_DEP_1)
	v_or_b32_e32 v9, 0x800, v9
; %bb.6519:                             ;   in Loop: Header=BB1_2 Depth=1
	s_or_b32 exec_lo, exec_lo, s96
.LBB1_6520:                             ;   in Loop: Header=BB1_2 Depth=1
	s_and_not1_saveexec_b32 s95, s95
; %bb.6521:                             ;   in Loop: Header=BB1_2 Depth=1
	s_delay_alu instid0(VALU_DEP_1)
	v_or_b32_e32 v9, 0xc00, v9
; %bb.6522:                             ;   in Loop: Header=BB1_2 Depth=1
	s_or_b32 exec_lo, exec_lo, s95
.LBB1_6523:                             ;   in Loop: Header=BB1_2 Depth=1
	s_and_not1_saveexec_b32 s94, s94
; %bb.6524:                             ;   in Loop: Header=BB1_2 Depth=1
	s_delay_alu instid0(VALU_DEP_1)
	v_or_b32_e32 v9, 0x1000, v9
; %bb.6525:                             ;   in Loop: Header=BB1_2 Depth=1
	s_or_b32 exec_lo, exec_lo, s94
.LBB1_6526:                             ;   in Loop: Header=BB1_2 Depth=1
	s_and_not1_saveexec_b32 s93, s93
; %bb.6527:                             ;   in Loop: Header=BB1_2 Depth=1
	s_delay_alu instid0(VALU_DEP_1)
	v_or_b32_e32 v9, 0x1400, v9
; %bb.6528:                             ;   in Loop: Header=BB1_2 Depth=1
	s_or_b32 exec_lo, exec_lo, s93
.LBB1_6529:                             ;   in Loop: Header=BB1_2 Depth=1
	s_and_not1_saveexec_b32 s92, s92
; %bb.6530:                             ;   in Loop: Header=BB1_2 Depth=1
	s_delay_alu instid0(VALU_DEP_1)
	v_or_b32_e32 v9, 0x1800, v9
; %bb.6531:                             ;   in Loop: Header=BB1_2 Depth=1
	s_or_b32 exec_lo, exec_lo, s92
.LBB1_6532:                             ;   in Loop: Header=BB1_2 Depth=1
	s_and_not1_saveexec_b32 s91, s91
; %bb.6533:                             ;   in Loop: Header=BB1_2 Depth=1
	s_delay_alu instid0(VALU_DEP_1)
	v_or_b32_e32 v9, 0x1c00, v9
; %bb.6534:                             ;   in Loop: Header=BB1_2 Depth=1
	s_or_b32 exec_lo, exec_lo, s91
.LBB1_6535:                             ;   in Loop: Header=BB1_2 Depth=1
	s_and_not1_saveexec_b32 s90, s90
; %bb.6536:                             ;   in Loop: Header=BB1_2 Depth=1
	s_delay_alu instid0(VALU_DEP_1)
	v_or_b32_e32 v9, 0x2000, v9
; %bb.6537:                             ;   in Loop: Header=BB1_2 Depth=1
	s_or_b32 exec_lo, exec_lo, s90
.LBB1_6538:                             ;   in Loop: Header=BB1_2 Depth=1
	s_and_not1_saveexec_b32 s89, s89
; %bb.6539:                             ;   in Loop: Header=BB1_2 Depth=1
	s_delay_alu instid0(VALU_DEP_1)
	v_or_b32_e32 v9, 0x2400, v9
; %bb.6540:                             ;   in Loop: Header=BB1_2 Depth=1
	s_or_b32 exec_lo, exec_lo, s89
.LBB1_6541:                             ;   in Loop: Header=BB1_2 Depth=1
	s_and_not1_saveexec_b32 s88, s88
; %bb.6542:                             ;   in Loop: Header=BB1_2 Depth=1
	s_delay_alu instid0(VALU_DEP_1)
	v_or_b32_e32 v9, 0x2800, v9
; %bb.6543:                             ;   in Loop: Header=BB1_2 Depth=1
	s_or_b32 exec_lo, exec_lo, s88
.LBB1_6544:                             ;   in Loop: Header=BB1_2 Depth=1
	s_and_not1_saveexec_b32 s87, s87
; %bb.6545:                             ;   in Loop: Header=BB1_2 Depth=1
	s_delay_alu instid0(VALU_DEP_1)
	v_or_b32_e32 v9, 0x2c00, v9
; %bb.6546:                             ;   in Loop: Header=BB1_2 Depth=1
	s_or_b32 exec_lo, exec_lo, s87
.LBB1_6547:                             ;   in Loop: Header=BB1_2 Depth=1
	s_and_not1_saveexec_b32 s86, s86
; %bb.6548:                             ;   in Loop: Header=BB1_2 Depth=1
	s_delay_alu instid0(VALU_DEP_1)
	v_or_b32_e32 v9, 0x3000, v9
; %bb.6549:                             ;   in Loop: Header=BB1_2 Depth=1
	s_or_b32 exec_lo, exec_lo, s86
.LBB1_6550:                             ;   in Loop: Header=BB1_2 Depth=1
	s_and_not1_saveexec_b32 s85, s85
; %bb.6551:                             ;   in Loop: Header=BB1_2 Depth=1
	s_delay_alu instid0(VALU_DEP_1)
	v_or_b32_e32 v9, 0x3400, v9
; %bb.6552:                             ;   in Loop: Header=BB1_2 Depth=1
	s_or_b32 exec_lo, exec_lo, s85
.LBB1_6553:                             ;   in Loop: Header=BB1_2 Depth=1
	s_and_not1_saveexec_b32 s84, s84
; %bb.6554:                             ;   in Loop: Header=BB1_2 Depth=1
	s_delay_alu instid0(VALU_DEP_1)
	v_or_b32_e32 v9, 0x3800, v9
; %bb.6555:                             ;   in Loop: Header=BB1_2 Depth=1
	s_or_b32 exec_lo, exec_lo, s84
.LBB1_6556:                             ;   in Loop: Header=BB1_2 Depth=1
	s_and_not1_saveexec_b32 s83, s83
; %bb.6557:                             ;   in Loop: Header=BB1_2 Depth=1
	s_delay_alu instid0(VALU_DEP_1)
	v_or_b32_e32 v9, 0x3c00, v9
; %bb.6558:                             ;   in Loop: Header=BB1_2 Depth=1
	s_or_b32 exec_lo, exec_lo, s83
.LBB1_6559:                             ;   in Loop: Header=BB1_2 Depth=1
	s_and_not1_saveexec_b32 s82, s82
; %bb.6560:                             ;   in Loop: Header=BB1_2 Depth=1
	s_delay_alu instid0(VALU_DEP_1)
	v_or_b32_e32 v9, 0x4000, v9
; %bb.6561:                             ;   in Loop: Header=BB1_2 Depth=1
	s_or_b32 exec_lo, exec_lo, s82
.LBB1_6562:                             ;   in Loop: Header=BB1_2 Depth=1
	s_and_not1_saveexec_b32 s81, s81
; %bb.6563:                             ;   in Loop: Header=BB1_2 Depth=1
	s_delay_alu instid0(VALU_DEP_1)
	v_or_b32_e32 v9, 0x4400, v9
; %bb.6564:                             ;   in Loop: Header=BB1_2 Depth=1
	s_or_b32 exec_lo, exec_lo, s81
.LBB1_6565:                             ;   in Loop: Header=BB1_2 Depth=1
	s_and_not1_saveexec_b32 s80, s80
; %bb.6566:                             ;   in Loop: Header=BB1_2 Depth=1
	s_delay_alu instid0(VALU_DEP_1)
	v_or_b32_e32 v9, 0x4800, v9
; %bb.6567:                             ;   in Loop: Header=BB1_2 Depth=1
	s_or_b32 exec_lo, exec_lo, s80
.LBB1_6568:                             ;   in Loop: Header=BB1_2 Depth=1
	s_and_not1_saveexec_b32 s79, s79
; %bb.6569:                             ;   in Loop: Header=BB1_2 Depth=1
	s_delay_alu instid0(VALU_DEP_1)
	v_or_b32_e32 v9, 0x4c00, v9
; %bb.6570:                             ;   in Loop: Header=BB1_2 Depth=1
	s_or_b32 exec_lo, exec_lo, s79
.LBB1_6571:                             ;   in Loop: Header=BB1_2 Depth=1
	s_and_not1_saveexec_b32 s78, s78
; %bb.6572:                             ;   in Loop: Header=BB1_2 Depth=1
	s_delay_alu instid0(VALU_DEP_1)
	v_or_b32_e32 v9, 0x5000, v9
; %bb.6573:                             ;   in Loop: Header=BB1_2 Depth=1
	s_or_b32 exec_lo, exec_lo, s78
.LBB1_6574:                             ;   in Loop: Header=BB1_2 Depth=1
	s_and_not1_saveexec_b32 s77, s77
; %bb.6575:                             ;   in Loop: Header=BB1_2 Depth=1
	s_delay_alu instid0(VALU_DEP_1)
	v_or_b32_e32 v9, 0x5400, v9
; %bb.6576:                             ;   in Loop: Header=BB1_2 Depth=1
	s_or_b32 exec_lo, exec_lo, s77
.LBB1_6577:                             ;   in Loop: Header=BB1_2 Depth=1
	s_and_not1_saveexec_b32 s76, s76
; %bb.6578:                             ;   in Loop: Header=BB1_2 Depth=1
	s_delay_alu instid0(VALU_DEP_1)
	v_or_b32_e32 v9, 0x5800, v9
; %bb.6579:                             ;   in Loop: Header=BB1_2 Depth=1
	s_or_b32 exec_lo, exec_lo, s76
.LBB1_6580:                             ;   in Loop: Header=BB1_2 Depth=1
	s_and_not1_saveexec_b32 s75, s75
; %bb.6581:                             ;   in Loop: Header=BB1_2 Depth=1
	s_delay_alu instid0(VALU_DEP_1)
	v_or_b32_e32 v9, 0x5c00, v9
; %bb.6582:                             ;   in Loop: Header=BB1_2 Depth=1
	s_or_b32 exec_lo, exec_lo, s75
.LBB1_6583:                             ;   in Loop: Header=BB1_2 Depth=1
	s_and_not1_saveexec_b32 s74, s74
; %bb.6584:                             ;   in Loop: Header=BB1_2 Depth=1
	s_delay_alu instid0(VALU_DEP_1)
	v_or_b32_e32 v9, 0x6000, v9
; %bb.6585:                             ;   in Loop: Header=BB1_2 Depth=1
	s_or_b32 exec_lo, exec_lo, s74
.LBB1_6586:                             ;   in Loop: Header=BB1_2 Depth=1
	s_and_not1_saveexec_b32 s73, s73
; %bb.6587:                             ;   in Loop: Header=BB1_2 Depth=1
	s_delay_alu instid0(VALU_DEP_1)
	v_or_b32_e32 v9, 0x6400, v9
; %bb.6588:                             ;   in Loop: Header=BB1_2 Depth=1
	s_or_b32 exec_lo, exec_lo, s73
.LBB1_6589:                             ;   in Loop: Header=BB1_2 Depth=1
	s_and_not1_saveexec_b32 s72, s72
; %bb.6590:                             ;   in Loop: Header=BB1_2 Depth=1
	s_delay_alu instid0(VALU_DEP_1)
	v_or_b32_e32 v9, 0x6800, v9
; %bb.6591:                             ;   in Loop: Header=BB1_2 Depth=1
	s_or_b32 exec_lo, exec_lo, s72
.LBB1_6592:                             ;   in Loop: Header=BB1_2 Depth=1
	s_and_not1_saveexec_b32 s35, s35
; %bb.6593:                             ;   in Loop: Header=BB1_2 Depth=1
	s_delay_alu instid0(VALU_DEP_1)
	v_or_b32_e32 v9, 0x6c00, v9
; %bb.6594:                             ;   in Loop: Header=BB1_2 Depth=1
	s_or_b32 exec_lo, exec_lo, s35
.LBB1_6595:                             ;   in Loop: Header=BB1_2 Depth=1
	s_and_not1_saveexec_b32 s34, s34
; %bb.6596:                             ;   in Loop: Header=BB1_2 Depth=1
	s_delay_alu instid0(VALU_DEP_1)
	v_or_b32_e32 v9, 0x7000, v9
; %bb.6597:                             ;   in Loop: Header=BB1_2 Depth=1
	s_or_b32 exec_lo, exec_lo, s34
.LBB1_6598:                             ;   in Loop: Header=BB1_2 Depth=1
	s_and_not1_saveexec_b32 s33, s33
; %bb.6599:                             ;   in Loop: Header=BB1_2 Depth=1
	s_delay_alu instid0(VALU_DEP_1)
	v_or_b32_e32 v9, 0x7400, v9
; %bb.6600:                             ;   in Loop: Header=BB1_2 Depth=1
	s_or_b32 exec_lo, exec_lo, s33
.LBB1_6601:                             ;   in Loop: Header=BB1_2 Depth=1
	s_and_not1_saveexec_b32 s31, s31
; %bb.6602:                             ;   in Loop: Header=BB1_2 Depth=1
	s_delay_alu instid0(VALU_DEP_1)
	v_or_b32_e32 v9, 0x7800, v9
; %bb.6603:                             ;   in Loop: Header=BB1_2 Depth=1
	s_or_b32 exec_lo, exec_lo, s31
.LBB1_6604:                             ;   in Loop: Header=BB1_2 Depth=1
	s_and_not1_saveexec_b32 s30, s30
; %bb.6605:                             ;   in Loop: Header=BB1_2 Depth=1
	s_delay_alu instid0(VALU_DEP_1)
	v_or_b32_e32 v9, 0x7c00, v9
; %bb.6606:                             ;   in Loop: Header=BB1_2 Depth=1
	s_or_b32 exec_lo, exec_lo, s30
	v_mov_b32_e32 v0, s1
	s_mov_b32 s30, exec_lo
	ds_load_2addr_b64 v[10:13], v0 offset0:186 offset1:187
	ds_load_b64 v[14:15], v0 offset:1504
	s_wait_dscnt 0x1
	v_mul_f64_e32 v[0:1], v[4:5], v[12:13]
	s_delay_alu instid0(VALU_DEP_1) | instskip(SKIP_1) | instid1(VALU_DEP_1)
	v_fmac_f64_e32 v[0:1], v[2:3], v[10:11]
	s_wait_dscnt 0x0
	v_fmac_f64_e32 v[0:1], v[6:7], v[14:15]
	s_delay_alu instid0(VALU_DEP_1)
	v_cmpx_ngt_f64_e32 s[28:29], v[0:1]
	s_xor_b32 s30, exec_lo, s30
	s_cbranch_execz .LBB1_6726
; %bb.6607:                             ;   in Loop: Header=BB1_2 Depth=1
	s_mov_b32 s31, exec_lo
	v_cmpx_ngt_f64_e32 s[70:71], v[0:1]
	s_xor_b32 s31, exec_lo, s31
	s_cbranch_execz .LBB1_6723
; %bb.6608:                             ;   in Loop: Header=BB1_2 Depth=1
	s_mov_b32 s33, exec_lo
	;; [unrolled: 5-line block ×30, first 2 shown]
	v_cmpx_gt_f64_e32 s[52:53], v[0:1]
; %bb.6637:                             ;   in Loop: Header=BB1_2 Depth=1
	v_add_nc_u32_e32 v9, 0x40000, v9
; %bb.6638:                             ;   in Loop: Header=BB1_2 Depth=1
	s_or_b32 exec_lo, exec_lo, s97
.LBB1_6639:                             ;   in Loop: Header=BB1_2 Depth=1
	s_and_not1_saveexec_b32 s96, s96
; %bb.6640:                             ;   in Loop: Header=BB1_2 Depth=1
	s_delay_alu instid0(VALU_DEP_1)
	v_add_nc_u32_e32 v9, 0x80000, v9
; %bb.6641:                             ;   in Loop: Header=BB1_2 Depth=1
	s_or_b32 exec_lo, exec_lo, s96
.LBB1_6642:                             ;   in Loop: Header=BB1_2 Depth=1
	s_and_not1_saveexec_b32 s95, s95
; %bb.6643:                             ;   in Loop: Header=BB1_2 Depth=1
	s_delay_alu instid0(VALU_DEP_1)
	v_add_nc_u32_e32 v9, 0xc0000, v9
; %bb.6644:                             ;   in Loop: Header=BB1_2 Depth=1
	s_or_b32 exec_lo, exec_lo, s95
.LBB1_6645:                             ;   in Loop: Header=BB1_2 Depth=1
	s_and_not1_saveexec_b32 s94, s94
; %bb.6646:                             ;   in Loop: Header=BB1_2 Depth=1
	s_delay_alu instid0(VALU_DEP_1)
	v_add_nc_u32_e32 v9, 0x100000, v9
; %bb.6647:                             ;   in Loop: Header=BB1_2 Depth=1
	s_or_b32 exec_lo, exec_lo, s94
.LBB1_6648:                             ;   in Loop: Header=BB1_2 Depth=1
	s_and_not1_saveexec_b32 s93, s93
; %bb.6649:                             ;   in Loop: Header=BB1_2 Depth=1
	s_delay_alu instid0(VALU_DEP_1)
	v_add_nc_u32_e32 v9, 0x140000, v9
; %bb.6650:                             ;   in Loop: Header=BB1_2 Depth=1
	s_or_b32 exec_lo, exec_lo, s93
.LBB1_6651:                             ;   in Loop: Header=BB1_2 Depth=1
	s_and_not1_saveexec_b32 s92, s92
; %bb.6652:                             ;   in Loop: Header=BB1_2 Depth=1
	s_delay_alu instid0(VALU_DEP_1)
	v_add_nc_u32_e32 v9, 0x180000, v9
; %bb.6653:                             ;   in Loop: Header=BB1_2 Depth=1
	s_or_b32 exec_lo, exec_lo, s92
.LBB1_6654:                             ;   in Loop: Header=BB1_2 Depth=1
	s_and_not1_saveexec_b32 s91, s91
; %bb.6655:                             ;   in Loop: Header=BB1_2 Depth=1
	s_delay_alu instid0(VALU_DEP_1)
	v_add_nc_u32_e32 v9, 0x1c0000, v9
; %bb.6656:                             ;   in Loop: Header=BB1_2 Depth=1
	s_or_b32 exec_lo, exec_lo, s91
.LBB1_6657:                             ;   in Loop: Header=BB1_2 Depth=1
	s_and_not1_saveexec_b32 s90, s90
; %bb.6658:                             ;   in Loop: Header=BB1_2 Depth=1
	s_delay_alu instid0(VALU_DEP_1)
	v_add_nc_u32_e32 v9, 0x200000, v9
; %bb.6659:                             ;   in Loop: Header=BB1_2 Depth=1
	s_or_b32 exec_lo, exec_lo, s90
.LBB1_6660:                             ;   in Loop: Header=BB1_2 Depth=1
	s_and_not1_saveexec_b32 s89, s89
; %bb.6661:                             ;   in Loop: Header=BB1_2 Depth=1
	s_delay_alu instid0(VALU_DEP_1)
	v_add_nc_u32_e32 v9, 0x240000, v9
; %bb.6662:                             ;   in Loop: Header=BB1_2 Depth=1
	s_or_b32 exec_lo, exec_lo, s89
.LBB1_6663:                             ;   in Loop: Header=BB1_2 Depth=1
	s_and_not1_saveexec_b32 s88, s88
; %bb.6664:                             ;   in Loop: Header=BB1_2 Depth=1
	s_delay_alu instid0(VALU_DEP_1)
	v_add_nc_u32_e32 v9, 0x280000, v9
; %bb.6665:                             ;   in Loop: Header=BB1_2 Depth=1
	s_or_b32 exec_lo, exec_lo, s88
.LBB1_6666:                             ;   in Loop: Header=BB1_2 Depth=1
	s_and_not1_saveexec_b32 s87, s87
; %bb.6667:                             ;   in Loop: Header=BB1_2 Depth=1
	s_delay_alu instid0(VALU_DEP_1)
	v_add_nc_u32_e32 v9, 0x2c0000, v9
; %bb.6668:                             ;   in Loop: Header=BB1_2 Depth=1
	s_or_b32 exec_lo, exec_lo, s87
.LBB1_6669:                             ;   in Loop: Header=BB1_2 Depth=1
	s_and_not1_saveexec_b32 s86, s86
; %bb.6670:                             ;   in Loop: Header=BB1_2 Depth=1
	s_delay_alu instid0(VALU_DEP_1)
	v_add_nc_u32_e32 v9, 0x300000, v9
; %bb.6671:                             ;   in Loop: Header=BB1_2 Depth=1
	s_or_b32 exec_lo, exec_lo, s86
.LBB1_6672:                             ;   in Loop: Header=BB1_2 Depth=1
	s_and_not1_saveexec_b32 s85, s85
; %bb.6673:                             ;   in Loop: Header=BB1_2 Depth=1
	s_delay_alu instid0(VALU_DEP_1)
	v_add_nc_u32_e32 v9, 0x340000, v9
; %bb.6674:                             ;   in Loop: Header=BB1_2 Depth=1
	s_or_b32 exec_lo, exec_lo, s85
.LBB1_6675:                             ;   in Loop: Header=BB1_2 Depth=1
	s_and_not1_saveexec_b32 s84, s84
; %bb.6676:                             ;   in Loop: Header=BB1_2 Depth=1
	s_delay_alu instid0(VALU_DEP_1)
	v_add_nc_u32_e32 v9, 0x380000, v9
; %bb.6677:                             ;   in Loop: Header=BB1_2 Depth=1
	s_or_b32 exec_lo, exec_lo, s84
.LBB1_6678:                             ;   in Loop: Header=BB1_2 Depth=1
	s_and_not1_saveexec_b32 s83, s83
; %bb.6679:                             ;   in Loop: Header=BB1_2 Depth=1
	s_delay_alu instid0(VALU_DEP_1)
	v_add_nc_u32_e32 v9, 0x3c0000, v9
; %bb.6680:                             ;   in Loop: Header=BB1_2 Depth=1
	s_or_b32 exec_lo, exec_lo, s83
.LBB1_6681:                             ;   in Loop: Header=BB1_2 Depth=1
	s_and_not1_saveexec_b32 s82, s82
; %bb.6682:                             ;   in Loop: Header=BB1_2 Depth=1
	s_delay_alu instid0(VALU_DEP_1)
	v_add_nc_u32_e32 v9, 0x400000, v9
; %bb.6683:                             ;   in Loop: Header=BB1_2 Depth=1
	s_or_b32 exec_lo, exec_lo, s82
.LBB1_6684:                             ;   in Loop: Header=BB1_2 Depth=1
	s_and_not1_saveexec_b32 s81, s81
; %bb.6685:                             ;   in Loop: Header=BB1_2 Depth=1
	s_delay_alu instid0(VALU_DEP_1)
	v_add_nc_u32_e32 v9, 0x440000, v9
; %bb.6686:                             ;   in Loop: Header=BB1_2 Depth=1
	s_or_b32 exec_lo, exec_lo, s81
.LBB1_6687:                             ;   in Loop: Header=BB1_2 Depth=1
	s_and_not1_saveexec_b32 s80, s80
; %bb.6688:                             ;   in Loop: Header=BB1_2 Depth=1
	s_delay_alu instid0(VALU_DEP_1)
	v_add_nc_u32_e32 v9, 0x480000, v9
; %bb.6689:                             ;   in Loop: Header=BB1_2 Depth=1
	s_or_b32 exec_lo, exec_lo, s80
.LBB1_6690:                             ;   in Loop: Header=BB1_2 Depth=1
	s_and_not1_saveexec_b32 s79, s79
; %bb.6691:                             ;   in Loop: Header=BB1_2 Depth=1
	s_delay_alu instid0(VALU_DEP_1)
	v_add_nc_u32_e32 v9, 0x4c0000, v9
; %bb.6692:                             ;   in Loop: Header=BB1_2 Depth=1
	s_or_b32 exec_lo, exec_lo, s79
.LBB1_6693:                             ;   in Loop: Header=BB1_2 Depth=1
	s_and_not1_saveexec_b32 s78, s78
; %bb.6694:                             ;   in Loop: Header=BB1_2 Depth=1
	s_delay_alu instid0(VALU_DEP_1)
	v_add_nc_u32_e32 v9, 0x500000, v9
; %bb.6695:                             ;   in Loop: Header=BB1_2 Depth=1
	s_or_b32 exec_lo, exec_lo, s78
.LBB1_6696:                             ;   in Loop: Header=BB1_2 Depth=1
	s_and_not1_saveexec_b32 s77, s77
; %bb.6697:                             ;   in Loop: Header=BB1_2 Depth=1
	s_delay_alu instid0(VALU_DEP_1)
	v_add_nc_u32_e32 v9, 0x540000, v9
; %bb.6698:                             ;   in Loop: Header=BB1_2 Depth=1
	s_or_b32 exec_lo, exec_lo, s77
.LBB1_6699:                             ;   in Loop: Header=BB1_2 Depth=1
	s_and_not1_saveexec_b32 s76, s76
; %bb.6700:                             ;   in Loop: Header=BB1_2 Depth=1
	s_delay_alu instid0(VALU_DEP_1)
	v_add_nc_u32_e32 v9, 0x580000, v9
; %bb.6701:                             ;   in Loop: Header=BB1_2 Depth=1
	s_or_b32 exec_lo, exec_lo, s76
.LBB1_6702:                             ;   in Loop: Header=BB1_2 Depth=1
	s_and_not1_saveexec_b32 s75, s75
; %bb.6703:                             ;   in Loop: Header=BB1_2 Depth=1
	s_delay_alu instid0(VALU_DEP_1)
	v_add_nc_u32_e32 v9, 0x5c0000, v9
; %bb.6704:                             ;   in Loop: Header=BB1_2 Depth=1
	s_or_b32 exec_lo, exec_lo, s75
.LBB1_6705:                             ;   in Loop: Header=BB1_2 Depth=1
	s_and_not1_saveexec_b32 s74, s74
; %bb.6706:                             ;   in Loop: Header=BB1_2 Depth=1
	s_delay_alu instid0(VALU_DEP_1)
	v_add_nc_u32_e32 v9, 0x600000, v9
; %bb.6707:                             ;   in Loop: Header=BB1_2 Depth=1
	s_or_b32 exec_lo, exec_lo, s74
.LBB1_6708:                             ;   in Loop: Header=BB1_2 Depth=1
	s_and_not1_saveexec_b32 s73, s73
; %bb.6709:                             ;   in Loop: Header=BB1_2 Depth=1
	s_delay_alu instid0(VALU_DEP_1)
	v_add_nc_u32_e32 v9, 0x640000, v9
; %bb.6710:                             ;   in Loop: Header=BB1_2 Depth=1
	s_or_b32 exec_lo, exec_lo, s73
.LBB1_6711:                             ;   in Loop: Header=BB1_2 Depth=1
	s_and_not1_saveexec_b32 s72, s72
; %bb.6712:                             ;   in Loop: Header=BB1_2 Depth=1
	s_delay_alu instid0(VALU_DEP_1)
	v_add_nc_u32_e32 v9, 0x680000, v9
; %bb.6713:                             ;   in Loop: Header=BB1_2 Depth=1
	s_or_b32 exec_lo, exec_lo, s72
.LBB1_6714:                             ;   in Loop: Header=BB1_2 Depth=1
	s_and_not1_saveexec_b32 s35, s35
; %bb.6715:                             ;   in Loop: Header=BB1_2 Depth=1
	s_delay_alu instid0(VALU_DEP_1)
	v_add_nc_u32_e32 v9, 0x6c0000, v9
; %bb.6716:                             ;   in Loop: Header=BB1_2 Depth=1
	s_or_b32 exec_lo, exec_lo, s35
.LBB1_6717:                             ;   in Loop: Header=BB1_2 Depth=1
	s_and_not1_saveexec_b32 s34, s34
; %bb.6718:                             ;   in Loop: Header=BB1_2 Depth=1
	s_delay_alu instid0(VALU_DEP_1)
	v_add_nc_u32_e32 v9, 0x700000, v9
; %bb.6719:                             ;   in Loop: Header=BB1_2 Depth=1
	s_or_b32 exec_lo, exec_lo, s34
.LBB1_6720:                             ;   in Loop: Header=BB1_2 Depth=1
	s_and_not1_saveexec_b32 s33, s33
; %bb.6721:                             ;   in Loop: Header=BB1_2 Depth=1
	s_delay_alu instid0(VALU_DEP_1)
	v_add_nc_u32_e32 v9, 0x740000, v9
; %bb.6722:                             ;   in Loop: Header=BB1_2 Depth=1
	s_or_b32 exec_lo, exec_lo, s33
.LBB1_6723:                             ;   in Loop: Header=BB1_2 Depth=1
	s_and_not1_saveexec_b32 s31, s31
; %bb.6724:                             ;   in Loop: Header=BB1_2 Depth=1
	s_delay_alu instid0(VALU_DEP_1)
	v_add_nc_u32_e32 v9, 0x780000, v9
; %bb.6725:                             ;   in Loop: Header=BB1_2 Depth=1
	s_or_b32 exec_lo, exec_lo, s31
.LBB1_6726:                             ;   in Loop: Header=BB1_2 Depth=1
	s_and_not1_saveexec_b32 s30, s30
; %bb.6727:                             ;   in Loop: Header=BB1_2 Depth=1
	s_delay_alu instid0(VALU_DEP_1)
	v_add_nc_u32_e32 v9, 0x7c0000, v9
; %bb.6728:                             ;   in Loop: Header=BB1_2 Depth=1
	s_or_b32 exec_lo, exec_lo, s30
	v_mov_b32_e32 v0, s1
	s_mov_b32 s1, exec_lo
	ds_load_2addr_b64 v[10:13], v0 offset0:189 offset1:190
	ds_load_b64 v[14:15], v0 offset:1528
	s_wait_dscnt 0x1
	v_mul_f64_e32 v[0:1], v[4:5], v[12:13]
	s_delay_alu instid0(VALU_DEP_1) | instskip(SKIP_1) | instid1(VALU_DEP_1)
	v_fmac_f64_e32 v[0:1], v[2:3], v[10:11]
	s_wait_dscnt 0x0
	v_fmac_f64_e32 v[0:1], v[6:7], v[14:15]
	s_delay_alu instid0(VALU_DEP_1)
	v_cmpx_ngt_f64_e32 s[28:29], v[0:1]
	s_xor_b32 s1, exec_lo, s1
	s_cbranch_execz .LBB1_6848
; %bb.6729:                             ;   in Loop: Header=BB1_2 Depth=1
	s_mov_b32 s30, exec_lo
	v_cmpx_ngt_f64_e32 s[70:71], v[0:1]
	s_xor_b32 s30, exec_lo, s30
	s_cbranch_execz .LBB1_6845
; %bb.6730:                             ;   in Loop: Header=BB1_2 Depth=1
	s_mov_b32 s31, exec_lo
	;; [unrolled: 5-line block ×30, first 2 shown]
	v_cmpx_gt_f64_e32 s[52:53], v[0:1]
; %bb.6759:                             ;   in Loop: Header=BB1_2 Depth=1
	v_add_nc_u32_e32 v9, 0x4000000, v9
; %bb.6760:                             ;   in Loop: Header=BB1_2 Depth=1
	s_or_b32 exec_lo, exec_lo, s96
.LBB1_6761:                             ;   in Loop: Header=BB1_2 Depth=1
	s_and_not1_saveexec_b32 s95, s95
; %bb.6762:                             ;   in Loop: Header=BB1_2 Depth=1
	s_delay_alu instid0(VALU_DEP_1)
	v_add_nc_u32_e32 v9, 0x8000000, v9
; %bb.6763:                             ;   in Loop: Header=BB1_2 Depth=1
	s_or_b32 exec_lo, exec_lo, s95
.LBB1_6764:                             ;   in Loop: Header=BB1_2 Depth=1
	s_and_not1_saveexec_b32 s94, s94
; %bb.6765:                             ;   in Loop: Header=BB1_2 Depth=1
	s_delay_alu instid0(VALU_DEP_1)
	v_add_nc_u32_e32 v9, 0xc000000, v9
; %bb.6766:                             ;   in Loop: Header=BB1_2 Depth=1
	s_or_b32 exec_lo, exec_lo, s94
.LBB1_6767:                             ;   in Loop: Header=BB1_2 Depth=1
	s_and_not1_saveexec_b32 s93, s93
; %bb.6768:                             ;   in Loop: Header=BB1_2 Depth=1
	s_delay_alu instid0(VALU_DEP_1)
	v_add_nc_u32_e32 v9, 0x10000000, v9
; %bb.6769:                             ;   in Loop: Header=BB1_2 Depth=1
	s_or_b32 exec_lo, exec_lo, s93
.LBB1_6770:                             ;   in Loop: Header=BB1_2 Depth=1
	s_and_not1_saveexec_b32 s92, s92
; %bb.6771:                             ;   in Loop: Header=BB1_2 Depth=1
	s_delay_alu instid0(VALU_DEP_1)
	v_add_nc_u32_e32 v9, 0x14000000, v9
; %bb.6772:                             ;   in Loop: Header=BB1_2 Depth=1
	s_or_b32 exec_lo, exec_lo, s92
.LBB1_6773:                             ;   in Loop: Header=BB1_2 Depth=1
	s_and_not1_saveexec_b32 s91, s91
; %bb.6774:                             ;   in Loop: Header=BB1_2 Depth=1
	s_delay_alu instid0(VALU_DEP_1)
	v_add_nc_u32_e32 v9, 0x18000000, v9
; %bb.6775:                             ;   in Loop: Header=BB1_2 Depth=1
	s_or_b32 exec_lo, exec_lo, s91
.LBB1_6776:                             ;   in Loop: Header=BB1_2 Depth=1
	s_and_not1_saveexec_b32 s90, s90
; %bb.6777:                             ;   in Loop: Header=BB1_2 Depth=1
	s_delay_alu instid0(VALU_DEP_1)
	v_add_nc_u32_e32 v9, 0x1c000000, v9
; %bb.6778:                             ;   in Loop: Header=BB1_2 Depth=1
	s_or_b32 exec_lo, exec_lo, s90
.LBB1_6779:                             ;   in Loop: Header=BB1_2 Depth=1
	s_and_not1_saveexec_b32 s89, s89
; %bb.6780:                             ;   in Loop: Header=BB1_2 Depth=1
	s_delay_alu instid0(VALU_DEP_1)
	v_add_nc_u32_e32 v9, 0x20000000, v9
; %bb.6781:                             ;   in Loop: Header=BB1_2 Depth=1
	s_or_b32 exec_lo, exec_lo, s89
.LBB1_6782:                             ;   in Loop: Header=BB1_2 Depth=1
	s_and_not1_saveexec_b32 s88, s88
; %bb.6783:                             ;   in Loop: Header=BB1_2 Depth=1
	s_delay_alu instid0(VALU_DEP_1)
	v_add_nc_u32_e32 v9, 0x24000000, v9
; %bb.6784:                             ;   in Loop: Header=BB1_2 Depth=1
	s_or_b32 exec_lo, exec_lo, s88
.LBB1_6785:                             ;   in Loop: Header=BB1_2 Depth=1
	s_and_not1_saveexec_b32 s87, s87
; %bb.6786:                             ;   in Loop: Header=BB1_2 Depth=1
	s_delay_alu instid0(VALU_DEP_1)
	v_add_nc_u32_e32 v9, 0x28000000, v9
; %bb.6787:                             ;   in Loop: Header=BB1_2 Depth=1
	s_or_b32 exec_lo, exec_lo, s87
.LBB1_6788:                             ;   in Loop: Header=BB1_2 Depth=1
	s_and_not1_saveexec_b32 s86, s86
; %bb.6789:                             ;   in Loop: Header=BB1_2 Depth=1
	s_delay_alu instid0(VALU_DEP_1)
	v_add_nc_u32_e32 v9, 0x2c000000, v9
; %bb.6790:                             ;   in Loop: Header=BB1_2 Depth=1
	s_or_b32 exec_lo, exec_lo, s86
.LBB1_6791:                             ;   in Loop: Header=BB1_2 Depth=1
	s_and_not1_saveexec_b32 s85, s85
; %bb.6792:                             ;   in Loop: Header=BB1_2 Depth=1
	s_delay_alu instid0(VALU_DEP_1)
	v_add_nc_u32_e32 v9, 0x30000000, v9
; %bb.6793:                             ;   in Loop: Header=BB1_2 Depth=1
	s_or_b32 exec_lo, exec_lo, s85
.LBB1_6794:                             ;   in Loop: Header=BB1_2 Depth=1
	s_and_not1_saveexec_b32 s84, s84
; %bb.6795:                             ;   in Loop: Header=BB1_2 Depth=1
	s_delay_alu instid0(VALU_DEP_1)
	v_add_nc_u32_e32 v9, 0x34000000, v9
; %bb.6796:                             ;   in Loop: Header=BB1_2 Depth=1
	s_or_b32 exec_lo, exec_lo, s84
.LBB1_6797:                             ;   in Loop: Header=BB1_2 Depth=1
	s_and_not1_saveexec_b32 s83, s83
; %bb.6798:                             ;   in Loop: Header=BB1_2 Depth=1
	s_delay_alu instid0(VALU_DEP_1)
	v_add_nc_u32_e32 v9, 0x38000000, v9
; %bb.6799:                             ;   in Loop: Header=BB1_2 Depth=1
	s_or_b32 exec_lo, exec_lo, s83
.LBB1_6800:                             ;   in Loop: Header=BB1_2 Depth=1
	s_and_not1_saveexec_b32 s82, s82
; %bb.6801:                             ;   in Loop: Header=BB1_2 Depth=1
	s_delay_alu instid0(VALU_DEP_1)
	v_add_nc_u32_e32 v9, 0x3c000000, v9
; %bb.6802:                             ;   in Loop: Header=BB1_2 Depth=1
	s_or_b32 exec_lo, exec_lo, s82
.LBB1_6803:                             ;   in Loop: Header=BB1_2 Depth=1
	s_and_not1_saveexec_b32 s81, s81
; %bb.6804:                             ;   in Loop: Header=BB1_2 Depth=1
	s_delay_alu instid0(VALU_DEP_1)
	v_add_nc_u32_e32 v9, 2.0, v9
; %bb.6805:                             ;   in Loop: Header=BB1_2 Depth=1
	s_or_b32 exec_lo, exec_lo, s81
.LBB1_6806:                             ;   in Loop: Header=BB1_2 Depth=1
	s_and_not1_saveexec_b32 s80, s80
; %bb.6807:                             ;   in Loop: Header=BB1_2 Depth=1
	s_delay_alu instid0(VALU_DEP_1)
	v_add_nc_u32_e32 v9, 0x44000000, v9
; %bb.6808:                             ;   in Loop: Header=BB1_2 Depth=1
	s_or_b32 exec_lo, exec_lo, s80
.LBB1_6809:                             ;   in Loop: Header=BB1_2 Depth=1
	s_and_not1_saveexec_b32 s79, s79
; %bb.6810:                             ;   in Loop: Header=BB1_2 Depth=1
	s_delay_alu instid0(VALU_DEP_1)
	v_add_nc_u32_e32 v9, 0x48000000, v9
; %bb.6811:                             ;   in Loop: Header=BB1_2 Depth=1
	s_or_b32 exec_lo, exec_lo, s79
.LBB1_6812:                             ;   in Loop: Header=BB1_2 Depth=1
	s_and_not1_saveexec_b32 s78, s78
; %bb.6813:                             ;   in Loop: Header=BB1_2 Depth=1
	s_delay_alu instid0(VALU_DEP_1)
	v_add_nc_u32_e32 v9, 0x4c000000, v9
; %bb.6814:                             ;   in Loop: Header=BB1_2 Depth=1
	s_or_b32 exec_lo, exec_lo, s78
.LBB1_6815:                             ;   in Loop: Header=BB1_2 Depth=1
	s_and_not1_saveexec_b32 s77, s77
; %bb.6816:                             ;   in Loop: Header=BB1_2 Depth=1
	s_delay_alu instid0(VALU_DEP_1)
	v_add_nc_u32_e32 v9, 0x50000000, v9
; %bb.6817:                             ;   in Loop: Header=BB1_2 Depth=1
	s_or_b32 exec_lo, exec_lo, s77
.LBB1_6818:                             ;   in Loop: Header=BB1_2 Depth=1
	s_and_not1_saveexec_b32 s76, s76
; %bb.6819:                             ;   in Loop: Header=BB1_2 Depth=1
	s_delay_alu instid0(VALU_DEP_1)
	v_add_nc_u32_e32 v9, 0x54000000, v9
; %bb.6820:                             ;   in Loop: Header=BB1_2 Depth=1
	s_or_b32 exec_lo, exec_lo, s76
.LBB1_6821:                             ;   in Loop: Header=BB1_2 Depth=1
	s_and_not1_saveexec_b32 s75, s75
; %bb.6822:                             ;   in Loop: Header=BB1_2 Depth=1
	s_delay_alu instid0(VALU_DEP_1)
	v_add_nc_u32_e32 v9, 0x58000000, v9
; %bb.6823:                             ;   in Loop: Header=BB1_2 Depth=1
	s_or_b32 exec_lo, exec_lo, s75
.LBB1_6824:                             ;   in Loop: Header=BB1_2 Depth=1
	s_and_not1_saveexec_b32 s74, s74
; %bb.6825:                             ;   in Loop: Header=BB1_2 Depth=1
	s_delay_alu instid0(VALU_DEP_1)
	v_add_nc_u32_e32 v9, 0x5c000000, v9
; %bb.6826:                             ;   in Loop: Header=BB1_2 Depth=1
	s_or_b32 exec_lo, exec_lo, s74
.LBB1_6827:                             ;   in Loop: Header=BB1_2 Depth=1
	s_and_not1_saveexec_b32 s73, s73
; %bb.6828:                             ;   in Loop: Header=BB1_2 Depth=1
	s_delay_alu instid0(VALU_DEP_1)
	v_add_nc_u32_e32 v9, 0x60000000, v9
; %bb.6829:                             ;   in Loop: Header=BB1_2 Depth=1
	s_or_b32 exec_lo, exec_lo, s73
.LBB1_6830:                             ;   in Loop: Header=BB1_2 Depth=1
	s_and_not1_saveexec_b32 s72, s72
; %bb.6831:                             ;   in Loop: Header=BB1_2 Depth=1
	s_delay_alu instid0(VALU_DEP_1)
	v_add_nc_u32_e32 v9, 0x64000000, v9
; %bb.6832:                             ;   in Loop: Header=BB1_2 Depth=1
	s_or_b32 exec_lo, exec_lo, s72
.LBB1_6833:                             ;   in Loop: Header=BB1_2 Depth=1
	s_and_not1_saveexec_b32 s35, s35
; %bb.6834:                             ;   in Loop: Header=BB1_2 Depth=1
	s_delay_alu instid0(VALU_DEP_1)
	v_add_nc_u32_e32 v9, 0x68000000, v9
; %bb.6835:                             ;   in Loop: Header=BB1_2 Depth=1
	s_or_b32 exec_lo, exec_lo, s35
.LBB1_6836:                             ;   in Loop: Header=BB1_2 Depth=1
	s_and_not1_saveexec_b32 s34, s34
; %bb.6837:                             ;   in Loop: Header=BB1_2 Depth=1
	s_delay_alu instid0(VALU_DEP_1)
	v_add_nc_u32_e32 v9, 0x6c000000, v9
; %bb.6838:                             ;   in Loop: Header=BB1_2 Depth=1
	s_or_b32 exec_lo, exec_lo, s34
.LBB1_6839:                             ;   in Loop: Header=BB1_2 Depth=1
	s_and_not1_saveexec_b32 s33, s33
; %bb.6840:                             ;   in Loop: Header=BB1_2 Depth=1
	s_delay_alu instid0(VALU_DEP_1)
	v_add_nc_u32_e32 v9, 0x70000000, v9
; %bb.6841:                             ;   in Loop: Header=BB1_2 Depth=1
	s_or_b32 exec_lo, exec_lo, s33
.LBB1_6842:                             ;   in Loop: Header=BB1_2 Depth=1
	s_and_not1_saveexec_b32 s31, s31
; %bb.6843:                             ;   in Loop: Header=BB1_2 Depth=1
	s_delay_alu instid0(VALU_DEP_1)
	v_add_nc_u32_e32 v9, 0x74000000, v9
; %bb.6844:                             ;   in Loop: Header=BB1_2 Depth=1
	s_or_b32 exec_lo, exec_lo, s31
.LBB1_6845:                             ;   in Loop: Header=BB1_2 Depth=1
	s_and_not1_saveexec_b32 s30, s30
; %bb.6846:                             ;   in Loop: Header=BB1_2 Depth=1
	s_delay_alu instid0(VALU_DEP_1)
	v_add_nc_u32_e32 v9, 0x78000000, v9
; %bb.6847:                             ;   in Loop: Header=BB1_2 Depth=1
	s_or_b32 exec_lo, exec_lo, s30
.LBB1_6848:                             ;   in Loop: Header=BB1_2 Depth=1
	s_and_not1_saveexec_b32 s1, s1
	s_cbranch_execz .LBB1_1
; %bb.6849:                             ;   in Loop: Header=BB1_2 Depth=1
	s_delay_alu instid0(VALU_DEP_1)
	v_add_nc_u32_e32 v9, 0x7c000000, v9
	s_branch .LBB1_1
.LBB1_6850:
	s_endpgm
	.section	.rodata,"a",@progbits
	.p2align	6, 0x0
	.amdhsa_kernel _Z9ACFKernel9cartesianS_Pj
		.amdhsa_group_segment_fixed_size 0
		.amdhsa_private_segment_fixed_size 0
		.amdhsa_kernarg_size 72
		.amdhsa_user_sgpr_count 2
		.amdhsa_user_sgpr_dispatch_ptr 0
		.amdhsa_user_sgpr_queue_ptr 0
		.amdhsa_user_sgpr_kernarg_segment_ptr 1
		.amdhsa_user_sgpr_dispatch_id 0
		.amdhsa_user_sgpr_kernarg_preload_length 0
		.amdhsa_user_sgpr_kernarg_preload_offset 0
		.amdhsa_user_sgpr_private_segment_size 0
		.amdhsa_wavefront_size32 1
		.amdhsa_uses_dynamic_stack 0
		.amdhsa_enable_private_segment 0
		.amdhsa_system_sgpr_workgroup_id_x 1
		.amdhsa_system_sgpr_workgroup_id_y 1
		.amdhsa_system_sgpr_workgroup_id_z 0
		.amdhsa_system_sgpr_workgroup_info 0
		.amdhsa_system_vgpr_workitem_id 0
		.amdhsa_next_free_vgpr 18
		.amdhsa_next_free_sgpr 99
		.amdhsa_named_barrier_count 0
		.amdhsa_reserve_vcc 0
		.amdhsa_float_round_mode_32 0
		.amdhsa_float_round_mode_16_64 0
		.amdhsa_float_denorm_mode_32 3
		.amdhsa_float_denorm_mode_16_64 3
		.amdhsa_fp16_overflow 0
		.amdhsa_memory_ordered 1
		.amdhsa_forward_progress 1
		.amdhsa_inst_pref_size 255
		.amdhsa_round_robin_scheduling 0
		.amdhsa_exception_fp_ieee_invalid_op 0
		.amdhsa_exception_fp_denorm_src 0
		.amdhsa_exception_fp_ieee_div_zero 0
		.amdhsa_exception_fp_ieee_overflow 0
		.amdhsa_exception_fp_ieee_underflow 0
		.amdhsa_exception_fp_ieee_inexact 0
		.amdhsa_exception_int_div_zero 0
	.end_amdhsa_kernel
	.text
.Lfunc_end1:
	.size	_Z9ACFKernel9cartesianS_Pj, .Lfunc_end1-_Z9ACFKernel9cartesianS_Pj
                                        ; -- End function
	.set _Z9ACFKernel9cartesianS_Pj.num_vgpr, 18
	.set _Z9ACFKernel9cartesianS_Pj.num_agpr, 0
	.set _Z9ACFKernel9cartesianS_Pj.numbered_sgpr, 99
	.set _Z9ACFKernel9cartesianS_Pj.num_named_barrier, 0
	.set _Z9ACFKernel9cartesianS_Pj.private_seg_size, 0
	.set _Z9ACFKernel9cartesianS_Pj.uses_vcc, 0
	.set _Z9ACFKernel9cartesianS_Pj.uses_flat_scratch, 0
	.set _Z9ACFKernel9cartesianS_Pj.has_dyn_sized_stack, 0
	.set _Z9ACFKernel9cartesianS_Pj.has_recursion, 0
	.set _Z9ACFKernel9cartesianS_Pj.has_indirect_call, 0
	.section	.AMDGPU.csdata,"",@progbits
; Kernel info:
; codeLenInByte = 69528
; TotalNumSgprs: 99
; NumVgprs: 18
; ScratchSize: 0
; MemoryBound: 0
; FloatMode: 240
; IeeeMode: 1
; LDSByteSize: 0 bytes/workgroup (compile time only)
; SGPRBlocks: 0
; VGPRBlocks: 1
; NumSGPRsForWavesPerEU: 99
; NumVGPRsForWavesPerEU: 18
; NamedBarCnt: 0
; Occupancy: 16
; WaveLimiterHint : 0
; COMPUTE_PGM_RSRC2:SCRATCH_EN: 0
; COMPUTE_PGM_RSRC2:USER_SGPR: 2
; COMPUTE_PGM_RSRC2:TRAP_HANDLER: 0
; COMPUTE_PGM_RSRC2:TGID_X_EN: 1
; COMPUTE_PGM_RSRC2:TGID_Y_EN: 1
; COMPUTE_PGM_RSRC2:TGID_Z_EN: 0
; COMPUTE_PGM_RSRC2:TIDIG_COMP_CNT: 0
	.text
	.protected	_Z11histoKernelPjS_i    ; -- Begin function _Z11histoKernelPjS_i
	.globl	_Z11histoKernelPjS_i
	.p2align	8
	.type	_Z11histoKernelPjS_i,@function
_Z11histoKernelPjS_i:                   ; @_Z11histoKernelPjS_i
; %bb.0:
	s_load_b32 s2, s[0:1], 0x24
	v_dual_mov_b32 v2, v0 :: v_dual_lshlrev_b32 v1, 2, v0
	s_mov_b32 s5, -1
	s_delay_alu instid0(VALU_DEP_1) | instskip(SKIP_2) | instid1(SALU_CYCLE_1)
	v_mov_b32_e32 v3, v1
	s_wait_kmcnt 0x0
	s_and_b32 s6, s2, 0xffff
	s_cmp_lg_u32 s6, 1
	s_cbranch_scc1 .LBB2_9
; %bb.1:
	v_dual_mov_b32 v5, 0 :: v_dual_sub_nc_u32 v2, 0x7fe, v0
	s_mov_b32 s2, 0
	s_delay_alu instid0(VALU_DEP_1) | instskip(NEXT) | instid1(VALU_DEP_1)
	v_lshrrev_b32_e32 v2, 1, v2
	v_dual_add_nc_u32 v3, 1, v2 :: v_dual_lshlrev_b32 v2, 2, v0
	s_delay_alu instid0(VALU_DEP_1)
	v_and_b32_e32 v4, 0x7f8, v3
.LBB2_2:                                ; =>This Inner Loop Header: Depth=1
	s_delay_alu instid0(VALU_DEP_1)
	v_add_nc_u32_e32 v4, -8, v4
	ds_store_2addr_b32 v2, v5, v5 offset1:1
	ds_store_2addr_b32 v2, v5, v5 offset0:2 offset1:3
	ds_store_2addr_b32 v2, v5, v5 offset0:4 offset1:5
	;; [unrolled: 1-line block ×7, first 2 shown]
	v_add_nc_u32_e32 v2, 64, v2
	v_cmp_eq_u32_e32 vcc_lo, 0, v4
	s_or_b32 s2, vcc_lo, s2
	s_delay_alu instid0(SALU_CYCLE_1)
	s_and_not1_b32 exec_lo, exec_lo, s2
	s_cbranch_execnz .LBB2_2
; %bb.3:
	s_or_b32 exec_lo, exec_lo, s2
	v_and_b32_e32 v3, 7, v3
	s_mov_b32 s3, 0
	s_mov_b32 s2, exec_lo
	s_delay_alu instid0(VALU_DEP_1)
	v_cmpx_ne_u32_e32 0, v3
	s_cbranch_execz .LBB2_6
; %bb.4:
	v_dual_mov_b32 v4, 0 :: v_dual_sub_nc_u32 v3, 0, v3
.LBB2_5:                                ; =>This Inner Loop Header: Depth=1
	ds_store_2addr_b32 v2, v4, v4 offset1:1
	v_add_nc_u32_e32 v2, 8, v2
	v_add_co_u32 v3, s4, v3, 1
	s_or_b32 s3, s4, s3
	s_delay_alu instid0(SALU_CYCLE_1)
	s_and_not1_b32 exec_lo, exec_lo, s3
	s_cbranch_execnz .LBB2_5
.LBB2_6:
	s_or_b32 exec_lo, exec_lo, s2
	v_sub_nc_u32_e32 v2, 0x800, v0
	s_mov_b32 s5, 0
                                        ; implicit-def: $vgpr3
	s_delay_alu instid0(VALU_DEP_1) | instskip(NEXT) | instid1(VALU_DEP_1)
	v_and_b32_e32 v4, 0xffe, v2
	v_cmp_ne_u32_e32 vcc_lo, v2, v4
                                        ; implicit-def: $vgpr2
	s_and_saveexec_b32 s2, vcc_lo
; %bb.7:
	v_add_nc_u32_e32 v2, v0, v4
	s_mov_b32 s5, exec_lo
	s_delay_alu instid0(VALU_DEP_1)
	v_lshlrev_b32_e32 v3, 2, v2
; %bb.8:
	s_or_b32 exec_lo, exec_lo, s2
.LBB2_9:
	s_load_b64 s[2:3], s[0:1], 0x0
	s_and_saveexec_b32 s4, s5
	s_cbranch_execz .LBB2_12
; %bb.10:
	v_mov_b32_e32 v4, 0
	s_lshl_b32 s5, s6, 2
	s_mov_b32 s7, 0
.LBB2_11:                               ; =>This Inner Loop Header: Depth=1
	v_add_nc_u32_e32 v2, s6, v2
	ds_store_b32 v3, v4
	v_add_nc_u32_e32 v3, s5, v3
	v_cmp_lt_u32_e32 vcc_lo, 0x7ff, v2
	s_or_b32 s7, vcc_lo, s7
	s_delay_alu instid0(SALU_CYCLE_1)
	s_and_not1_b32 exec_lo, exec_lo, s7
	s_cbranch_execnz .LBB2_11
.LBB2_12:
	s_or_b32 exec_lo, exec_lo, s4
	s_load_b64 s[4:5], s[0:1], 0x8
	s_wait_xcnt 0x0
	s_load_b32 s0, s[0:1], 0x10
	s_wait_xcnt 0x0
	s_bfe_u32 s1, ttmp6, 0x4000c
	s_and_b32 s7, ttmp6, 15
	s_add_co_i32 s1, s1, 1
	s_getreg_b32 s8, hwreg(HW_REG_IB_STS2, 6, 4)
	s_mul_i32 s1, ttmp9, s1
	v_and_b32_e32 v4, 60, v1
	s_add_co_i32 s7, s7, s1
	s_cmp_eq_u32 s8, 0
	s_mov_b32 s1, 0
	s_cselect_b32 s7, ttmp9, s7
	s_mov_b32 s8, exec_lo
	s_bfe_i32 s9, s7, 0x180000
	s_wait_dscnt 0x0
	s_mulk_i32 s9, 0x1f80
	s_barrier_signal -1
	s_barrier_wait -1
	s_wait_kmcnt 0x0
	s_sub_co_i32 s0, s0, s9
	s_delay_alu instid0(SALU_CYCLE_1)
	v_cmpx_gt_i32_e64 s0, v0
	s_cbranch_execz .LBB2_15
; %bb.13:
	v_and_b32_e32 v1, 0x3c0, v0
	v_dual_lshrrev_b32 v3, 4, v0 :: v_dual_add_nc_u32 v2, s9, v0
	v_mov_b32_e32 v5, v0
	s_delay_alu instid0(VALU_DEP_2) | instskip(NEXT) | instid1(VALU_DEP_1)
	v_and_or_b32 v1, v3, 3, v1
	v_dual_ashrrev_i32 v3, 31, v2 :: v_dual_add_nc_u32 v1, v1, v4
	s_delay_alu instid0(VALU_DEP_1)
	v_lshl_add_u64 v[2:3], v[2:3], 2, s[4:5]
	s_min_i32 s4, s0, 0x1f80
	s_lshl_b32 s0, s6, 2
	s_mov_b32 s5, s1
.LBB2_14:                               ; =>This Inner Loop Header: Depth=1
	global_load_b32 v6, v[2:3], off
	v_add_nc_u32_e32 v5, s6, v5
	s_wait_xcnt 0x0
	v_add_nc_u64_e32 v[2:3], s[0:1], v[2:3]
	s_delay_alu instid0(VALU_DEP_2) | instskip(SKIP_3) | instid1(VALU_DEP_1)
	v_cmp_le_i32_e32 vcc_lo, s4, v5
	s_or_b32 s5, vcc_lo, s5
	s_wait_loadcnt 0x0
	v_dual_lshlrev_b32 v7, 5, v6 :: v_dual_lshrrev_b32 v9, 3, v6
	v_and_b32_e32 v7, 0x1f80, v7
	s_delay_alu instid0(VALU_DEP_2) | instskip(NEXT) | instid1(VALU_DEP_1)
	v_and_b32_e32 v9, 0x1f80, v9
	v_dual_add_nc_u32 v7, v1, v7 :: v_dual_add_nc_u32 v9, v1, v9
	ds_load_u8 v8, v7
	s_wait_dscnt 0x0
	v_add_nc_u16 v8, v8, 1
	ds_store_b8 v7, v8
	ds_load_u8 v7, v9
	v_dual_lshrrev_b32 v8, 11, v6 :: v_dual_lshrrev_b32 v6, 19, v6
	s_delay_alu instid0(VALU_DEP_1) | instskip(NEXT) | instid1(VALU_DEP_2)
	v_and_b32_e32 v8, 0x1f80, v8
	v_and_b32_e32 v6, 0x1f80, v6
	s_delay_alu instid0(VALU_DEP_1)
	v_dual_add_nc_u32 v8, v1, v8 :: v_dual_add_nc_u32 v6, v1, v6
	s_wait_dscnt 0x0
	v_add_nc_u16 v7, v7, 1
	ds_store_b8 v9, v7
	ds_load_u8 v7, v8
	s_wait_dscnt 0x0
	v_add_nc_u16 v7, v7, 1
	ds_store_b8 v8, v7
	ds_load_u8 v7, v6
	s_wait_dscnt 0x0
	v_add_nc_u16 v7, v7, 1
	ds_store_b8 v6, v7
	s_and_not1_b32 exec_lo, exec_lo, s5
	s_cbranch_execnz .LBB2_14
.LBB2_15:
	s_or_b32 exec_lo, exec_lo, s8
	s_wait_dscnt 0x0
	s_barrier_signal -1
	s_barrier_wait -1
	s_mov_b32 s0, exec_lo
	v_cmpx_gt_u32_e32 64, v0
	s_cbranch_execz .LBB2_19
; %bb.16:
	v_dual_mov_b32 v2, 0 :: v_dual_lshlrev_b32 v1, 7, v0
	s_movk_i32 s0, 0x80
.LBB2_17:                               ; =>This Inner Loop Header: Depth=1
	s_delay_alu instid0(VALU_DEP_1) | instskip(SKIP_1) | instid1(SALU_CYCLE_1)
	v_dual_add_nc_u32 v3, 1, v4 :: v_dual_add_nc_u32 v4, v1, v4
	s_add_co_i32 s0, s0, -16
	s_cmp_eq_u32 s0, 0
	s_delay_alu instid0(VALU_DEP_1) | instskip(SKIP_2) | instid1(VALU_DEP_1)
	v_cmp_ne_u32_e32 vcc_lo, 0x80, v3
	ds_load_u8 v4, v4
	v_cndmask_b32_e32 v3, 0, v3, vcc_lo
	v_add_nc_u32_e32 v5, 1, v3
	s_delay_alu instid0(VALU_DEP_1) | instskip(SKIP_1) | instid1(VALU_DEP_1)
	v_cmp_ne_u32_e32 vcc_lo, 0x80, v5
	v_dual_cndmask_b32 v5, 0, v5, vcc_lo :: v_dual_add_nc_u32 v3, v1, v3
	v_dual_add_nc_u32 v6, 1, v5 :: v_dual_add_nc_u32 v5, v1, v5
	s_delay_alu instid0(VALU_DEP_1) | instskip(SKIP_2) | instid1(VALU_DEP_1)
	v_cmp_ne_u32_e32 vcc_lo, 0x80, v6
	ds_load_u8 v5, v5
	v_cndmask_b32_e32 v6, 0, v6, vcc_lo
	v_add_nc_u32_e32 v7, 1, v6
	s_delay_alu instid0(VALU_DEP_1) | instskip(SKIP_1) | instid1(VALU_DEP_1)
	v_cmp_ne_u32_e32 vcc_lo, 0x80, v7
	v_dual_cndmask_b32 v7, 0, v7 :: v_dual_add_nc_u32 v6, v1, v6
	v_dual_add_nc_u32 v8, 1, v7 :: v_dual_add_nc_u32 v7, v1, v7
	ds_load_u8 v6, v6
	v_cmp_ne_u32_e32 vcc_lo, 0x80, v8
	ds_load_u8 v7, v7
	v_cndmask_b32_e32 v8, 0, v8, vcc_lo
	s_delay_alu instid0(VALU_DEP_1) | instskip(NEXT) | instid1(VALU_DEP_1)
	v_add_nc_u32_e32 v9, 1, v8
	v_cmp_ne_u32_e32 vcc_lo, 0x80, v9
	v_dual_cndmask_b32 v9, 0, v9 :: v_dual_add_nc_u32 v8, v1, v8
	s_delay_alu instid0(VALU_DEP_1)
	v_dual_add_nc_u32 v10, 1, v9 :: v_dual_add_nc_u32 v9, v1, v9
	ds_load_u8 v8, v8
	v_cmp_ne_u32_e32 vcc_lo, 0x80, v10
	ds_load_u8 v9, v9
	ds_load_u8 v3, v3
	v_cndmask_b32_e32 v10, 0, v10, vcc_lo
	s_delay_alu instid0(VALU_DEP_1) | instskip(NEXT) | instid1(VALU_DEP_1)
	v_add_nc_u32_e32 v11, 1, v10
	v_cmp_ne_u32_e32 vcc_lo, 0x80, v11
	v_dual_cndmask_b32 v11, 0, v11 :: v_dual_add_nc_u32 v10, v1, v10
	s_wait_dscnt 0x0
	v_add3_u32 v2, v2, v4, v3
	s_delay_alu instid0(VALU_DEP_2) | instskip(NEXT) | instid1(VALU_DEP_2)
	v_dual_add_nc_u32 v3, 1, v11 :: v_dual_add_nc_u32 v4, v1, v11
	v_add3_u32 v2, v2, v5, v6
	ds_load_u8 v10, v10
	v_cmp_ne_u32_e32 vcc_lo, 0x80, v3
	ds_load_u8 v4, v4
	v_cndmask_b32_e32 v3, 0, v3, vcc_lo
	s_delay_alu instid0(VALU_DEP_1) | instskip(NEXT) | instid1(VALU_DEP_1)
	v_add_nc_u32_e32 v5, 1, v3
	v_cmp_ne_u32_e32 vcc_lo, 0x80, v5
	v_dual_cndmask_b32 v5, 0, v5, vcc_lo :: v_dual_add_nc_u32 v3, v1, v3
	s_delay_alu instid0(VALU_DEP_1) | instskip(NEXT) | instid1(VALU_DEP_1)
	v_dual_add_nc_u32 v6, 1, v5 :: v_dual_add_nc_u32 v5, v1, v5
	v_cmp_ne_u32_e32 vcc_lo, 0x80, v6
	ds_load_u8 v5, v5
	v_cndmask_b32_e32 v6, 0, v6, vcc_lo
	s_delay_alu instid0(VALU_DEP_1) | instskip(NEXT) | instid1(VALU_DEP_1)
	v_add_nc_u32_e32 v11, 1, v6
	v_cmp_ne_u32_e32 vcc_lo, 0x80, v11
	v_cndmask_b32_e32 v11, 0, v11, vcc_lo
	s_delay_alu instid0(VALU_DEP_1) | instskip(SKIP_1) | instid1(VALU_DEP_2)
	v_dual_add_nc_u32 v12, 1, v11 :: v_dual_add_nc_u32 v6, v1, v6
	v_add_nc_u32_e32 v11, v1, v11
	v_cmp_ne_u32_e32 vcc_lo, 0x80, v12
	ds_load_u8 v6, v6
	ds_load_u8 v3, v3
	v_add3_u32 v2, v2, v7, v8
	v_cndmask_b32_e32 v12, 0, v12, vcc_lo
	s_wait_dscnt 0x4
	s_delay_alu instid0(VALU_DEP_2) | instskip(NEXT) | instid1(VALU_DEP_2)
	v_add3_u32 v2, v2, v9, v10
	v_add_nc_u32_e32 v13, 1, v12
	s_delay_alu instid0(VALU_DEP_1) | instskip(SKIP_3) | instid1(VALU_DEP_2)
	v_cmp_ne_u32_e32 vcc_lo, 0x80, v13
	v_cndmask_b32_e32 v13, 0, v13, vcc_lo
	s_wait_dscnt 0x0
	v_add3_u32 v2, v2, v4, v3
	v_add_nc_u32_e32 v14, 1, v13
	s_delay_alu instid0(VALU_DEP_2) | instskip(NEXT) | instid1(VALU_DEP_2)
	v_add3_u32 v2, v2, v5, v6
	v_cmp_ne_u32_e32 vcc_lo, 0x80, v14
	v_dual_add_nc_u32 v12, v1, v12 :: v_dual_cndmask_b32 v14, 0, v14, vcc_lo
	ds_load_u8 v7, v11
	ds_load_u8 v8, v12
	v_dual_add_nc_u32 v11, v1, v13 :: v_dual_add_nc_u32 v12, v1, v14
	ds_load_u8 v9, v11
	ds_load_u8 v10, v12
	v_add_nc_u32_e32 v3, 1, v14
	s_delay_alu instid0(VALU_DEP_1) | instskip(SKIP_4) | instid1(VALU_DEP_1)
	v_cmp_ne_u32_e32 vcc_lo, 0x80, v3
	v_cndmask_b32_e32 v4, 0, v3, vcc_lo
	s_wait_dscnt 0x2
	v_add3_u32 v2, v2, v7, v8
	s_wait_dscnt 0x0
	v_add3_u32 v2, v2, v9, v10
	s_cbranch_scc0 .LBB2_17
; %bb.18:
	v_lshl_or_b32 v0, s7, 6, v0
	global_store_b32 v0, v2, s[2:3] scale_offset
.LBB2_19:
	s_endpgm
	.section	.rodata,"a",@progbits
	.p2align	6, 0x0
	.amdhsa_kernel _Z11histoKernelPjS_i
		.amdhsa_group_segment_fixed_size 8192
		.amdhsa_private_segment_fixed_size 0
		.amdhsa_kernarg_size 280
		.amdhsa_user_sgpr_count 2
		.amdhsa_user_sgpr_dispatch_ptr 0
		.amdhsa_user_sgpr_queue_ptr 0
		.amdhsa_user_sgpr_kernarg_segment_ptr 1
		.amdhsa_user_sgpr_dispatch_id 0
		.amdhsa_user_sgpr_kernarg_preload_length 0
		.amdhsa_user_sgpr_kernarg_preload_offset 0
		.amdhsa_user_sgpr_private_segment_size 0
		.amdhsa_wavefront_size32 1
		.amdhsa_uses_dynamic_stack 0
		.amdhsa_enable_private_segment 0
		.amdhsa_system_sgpr_workgroup_id_x 1
		.amdhsa_system_sgpr_workgroup_id_y 0
		.amdhsa_system_sgpr_workgroup_id_z 0
		.amdhsa_system_sgpr_workgroup_info 0
		.amdhsa_system_vgpr_workitem_id 0
		.amdhsa_next_free_vgpr 15
		.amdhsa_next_free_sgpr 10
		.amdhsa_named_barrier_count 0
		.amdhsa_reserve_vcc 1
		.amdhsa_float_round_mode_32 0
		.amdhsa_float_round_mode_16_64 0
		.amdhsa_float_denorm_mode_32 3
		.amdhsa_float_denorm_mode_16_64 3
		.amdhsa_fp16_overflow 0
		.amdhsa_memory_ordered 1
		.amdhsa_forward_progress 1
		.amdhsa_inst_pref_size 13
		.amdhsa_round_robin_scheduling 0
		.amdhsa_exception_fp_ieee_invalid_op 0
		.amdhsa_exception_fp_denorm_src 0
		.amdhsa_exception_fp_ieee_div_zero 0
		.amdhsa_exception_fp_ieee_overflow 0
		.amdhsa_exception_fp_ieee_underflow 0
		.amdhsa_exception_fp_ieee_inexact 0
		.amdhsa_exception_int_div_zero 0
	.end_amdhsa_kernel
	.text
.Lfunc_end2:
	.size	_Z11histoKernelPjS_i, .Lfunc_end2-_Z11histoKernelPjS_i
                                        ; -- End function
	.set _Z11histoKernelPjS_i.num_vgpr, 15
	.set _Z11histoKernelPjS_i.num_agpr, 0
	.set _Z11histoKernelPjS_i.numbered_sgpr, 10
	.set _Z11histoKernelPjS_i.num_named_barrier, 0
	.set _Z11histoKernelPjS_i.private_seg_size, 0
	.set _Z11histoKernelPjS_i.uses_vcc, 1
	.set _Z11histoKernelPjS_i.uses_flat_scratch, 0
	.set _Z11histoKernelPjS_i.has_dyn_sized_stack, 0
	.set _Z11histoKernelPjS_i.has_recursion, 0
	.set _Z11histoKernelPjS_i.has_indirect_call, 0
	.section	.AMDGPU.csdata,"",@progbits
; Kernel info:
; codeLenInByte = 1560
; TotalNumSgprs: 12
; NumVgprs: 15
; ScratchSize: 0
; MemoryBound: 0
; FloatMode: 240
; IeeeMode: 1
; LDSByteSize: 8192 bytes/workgroup (compile time only)
; SGPRBlocks: 0
; VGPRBlocks: 0
; NumSGPRsForWavesPerEU: 12
; NumVGPRsForWavesPerEU: 15
; NamedBarCnt: 0
; Occupancy: 16
; WaveLimiterHint : 0
; COMPUTE_PGM_RSRC2:SCRATCH_EN: 0
; COMPUTE_PGM_RSRC2:USER_SGPR: 2
; COMPUTE_PGM_RSRC2:TRAP_HANDLER: 0
; COMPUTE_PGM_RSRC2:TGID_X_EN: 1
; COMPUTE_PGM_RSRC2:TGID_Y_EN: 0
; COMPUTE_PGM_RSRC2:TGID_Z_EN: 0
; COMPUTE_PGM_RSRC2:TIDIG_COMP_CNT: 0
	.text
	.protected	_Z11mergeKernelPji      ; -- Begin function _Z11mergeKernelPji
	.globl	_Z11mergeKernelPji
	.p2align	8
	.type	_Z11mergeKernelPji,@function
_Z11mergeKernelPji:                     ; @_Z11mergeKernelPji
; %bb.0:
	s_load_b96 s[4:6], s[0:1], 0x0
	s_bfe_u32 s2, ttmp6, 0x4000c
	s_and_b32 s3, ttmp6, 15
	s_add_co_i32 s2, s2, 1
	s_getreg_b32 s8, hwreg(HW_REG_IB_STS2, 6, 4)
	s_mul_i32 s2, ttmp9, s2
	v_mov_b32_e32 v6, 0
	s_add_co_i32 s3, s3, s2
	s_wait_kmcnt 0x0
	s_lshl_b32 s7, s6, 6
	s_cmp_eq_u32 s8, 0
	s_mov_b32 s6, exec_lo
	s_cselect_b32 s2, ttmp9, s3
	s_delay_alu instid0(SALU_CYCLE_1) | instskip(NEXT) | instid1(VALU_DEP_1)
	v_lshl_add_u32 v0, s2, 6, v0
	v_cmpx_gt_i32_e64 s7, v0
	s_cbranch_execz .LBB3_10
; %bb.1:
	s_clause 0x1
	s_load_b32 s2, s[0:1], 0x1c
	s_load_b32 s3, s[0:1], 0x10
	v_mov_b32_e32 v6, 0
	s_wait_kmcnt 0x0
	s_and_b32 s0, s2, 0xffff
	s_delay_alu instid0(SALU_CYCLE_1) | instskip(NEXT) | instid1(SALU_CYCLE_1)
	s_mul_i32 s2, s3, s0
	s_cvt_f32_u32 s0, s2
	v_add_nc_u32_e32 v1, s2, v0
	s_sub_co_i32 s1, 0, s2
	s_delay_alu instid0(SALU_CYCLE_1) | instskip(NEXT) | instid1(VALU_DEP_1)
	v_rcp_iflag_f32_e32 v2, s0
	v_cmp_gt_i32_e32 vcc_lo, s7, v1
	s_delay_alu instid0(TRANS32_DEP_1) | instskip(SKIP_4) | instid1(SALU_CYCLE_2)
	v_readfirstlane_b32 s0, v2
	v_max_i32_e32 v2, s7, v1
	v_add_co_ci_u32_e64 v3, null, s2, v0, vcc_lo
	s_mul_f32 s0, s0, 0x4f7ffffe
	v_sub_nc_u32_e32 v2, v2, v3
	s_cvt_u32_f32 s0, s0
	s_delay_alu instid0(SALU_CYCLE_3) | instskip(NEXT) | instid1(SALU_CYCLE_1)
	s_mul_i32 s1, s1, s0
	s_mul_hi_u32 s1, s0, s1
	s_delay_alu instid0(SALU_CYCLE_1) | instskip(SKIP_2) | instid1(VALU_DEP_1)
	s_add_co_i32 s0, s0, s1
	s_mov_b32 s1, -1
	v_mul_hi_u32 v3, v2, s0
	v_mul_lo_u32 v4, v3, s2
	s_delay_alu instid0(VALU_DEP_1) | instskip(NEXT) | instid1(VALU_DEP_1)
	v_dual_sub_nc_u32 v2, v2, v4 :: v_dual_add_nc_u32 v4, 1, v3
	v_cmp_le_u32_e64 s0, s2, v2
	s_delay_alu instid0(VALU_DEP_1) | instskip(SKIP_1) | instid1(VALU_DEP_1)
	v_cndmask_b32_e64 v3, v3, v4, s0
	v_subrev_nc_u32_e32 v5, s2, v2
	v_dual_add_nc_u32 v4, 1, v3 :: v_dual_cndmask_b32 v2, v2, v5, s0
	s_delay_alu instid0(VALU_DEP_1) | instskip(NEXT) | instid1(VALU_DEP_1)
	v_cmp_le_u32_e64 s0, s2, v2
	v_cndmask_b32_e64 v2, v3, v4, s0
	s_mov_b32 s0, exec_lo
	s_delay_alu instid0(VALU_DEP_1) | instskip(SKIP_1) | instid1(VALU_DEP_2)
	v_add_co_ci_u32_e64 v4, null, 1, v2, vcc_lo
	v_mov_b32_e32 v2, v0
	v_cmpx_lt_u32_e32 1, v4
	s_cbranch_execz .LBB3_5
; %bb.2:
	v_dual_mov_b32 v6, 0 :: v_dual_bitop2_b32 v5, -2, v4 bitop3:0x40
	v_mov_b64_e32 v[2:3], v[0:1]
	v_mov_b32_e32 v7, 0
	s_lshl_b32 s1, s2, 1
	s_delay_alu instid0(VALU_DEP_3)
	v_mov_b32_e32 v8, v5
	s_mov_b32 s8, s1
	s_mov_b32 s3, 0
.LBB3_3:                                ; =>This Inner Loop Header: Depth=1
	s_clause 0x1
	global_load_b32 v1, v3, s[4:5] scale_offset
	global_load_b32 v9, v2, s[4:5] scale_offset
	s_wait_xcnt 0x1
	v_dual_add_nc_u32 v8, -2, v8 :: v_dual_add_nc_u32 v3, s8, v3
	s_wait_xcnt 0x0
	v_add_nc_u32_e32 v2, s1, v2
	s_delay_alu instid0(VALU_DEP_2)
	v_cmp_eq_u32_e32 vcc_lo, 0, v8
	s_or_b32 s3, vcc_lo, s3
	s_wait_loadcnt 0x1
	v_add_nc_u32_e32 v7, v1, v7
	s_wait_loadcnt 0x0
	v_add_nc_u32_e32 v6, v9, v6
	s_and_not1_b32 exec_lo, exec_lo, s3
	s_cbranch_execnz .LBB3_3
; %bb.4:
	s_or_b32 exec_lo, exec_lo, s3
	v_mad_u32 v2, v5, s2, v0
	v_cmp_ne_u32_e32 vcc_lo, v4, v5
	v_add_nc_u32_e32 v6, v6, v7
	s_or_not1_b32 s1, vcc_lo, exec_lo
.LBB3_5:
	s_or_b32 exec_lo, exec_lo, s0
	s_and_saveexec_b32 s8, s1
	s_cbranch_execz .LBB3_9
; %bb.6:
	s_delay_alu instid0(VALU_DEP_2) | instskip(SKIP_1) | instid1(SALU_CYCLE_1)
	v_ashrrev_i32_e32 v3, 31, v2
	s_ashr_i32 s3, s2, 31
	s_lshl_b64 s[0:1], s[2:3], 2
	s_mov_b32 s3, 0
	s_delay_alu instid0(VALU_DEP_1)
	v_lshl_add_u64 v[4:5], v[2:3], 2, s[4:5]
.LBB3_7:                                ; =>This Inner Loop Header: Depth=1
	global_load_b32 v1, v[4:5], off
	v_add_nc_u32_e32 v2, s2, v2
	s_wait_xcnt 0x0
	v_add_nc_u64_e32 v[4:5], s[0:1], v[4:5]
	s_delay_alu instid0(VALU_DEP_2)
	v_cmp_le_i32_e32 vcc_lo, s7, v2
	s_or_b32 s3, vcc_lo, s3
	s_wait_loadcnt 0x0
	v_add_nc_u32_e32 v6, v1, v6
	s_and_not1_b32 exec_lo, exec_lo, s3
	s_cbranch_execnz .LBB3_7
; %bb.8:
	s_or_b32 exec_lo, exec_lo, s3
.LBB3_9:
	s_delay_alu instid0(SALU_CYCLE_1)
	s_or_b32 exec_lo, exec_lo, s8
.LBB3_10:
	s_delay_alu instid0(SALU_CYCLE_1)
	s_or_b32 exec_lo, exec_lo, s6
	global_store_b32 v0, v6, s[4:5] scale_offset
	s_endpgm
	.section	.rodata,"a",@progbits
	.p2align	6, 0x0
	.amdhsa_kernel _Z11mergeKernelPji
		.amdhsa_group_segment_fixed_size 0
		.amdhsa_private_segment_fixed_size 0
		.amdhsa_kernarg_size 272
		.amdhsa_user_sgpr_count 2
		.amdhsa_user_sgpr_dispatch_ptr 0
		.amdhsa_user_sgpr_queue_ptr 0
		.amdhsa_user_sgpr_kernarg_segment_ptr 1
		.amdhsa_user_sgpr_dispatch_id 0
		.amdhsa_user_sgpr_kernarg_preload_length 0
		.amdhsa_user_sgpr_kernarg_preload_offset 0
		.amdhsa_user_sgpr_private_segment_size 0
		.amdhsa_wavefront_size32 1
		.amdhsa_uses_dynamic_stack 0
		.amdhsa_enable_private_segment 0
		.amdhsa_system_sgpr_workgroup_id_x 1
		.amdhsa_system_sgpr_workgroup_id_y 0
		.amdhsa_system_sgpr_workgroup_id_z 0
		.amdhsa_system_sgpr_workgroup_info 0
		.amdhsa_system_vgpr_workitem_id 0
		.amdhsa_next_free_vgpr 10
		.amdhsa_next_free_sgpr 9
		.amdhsa_named_barrier_count 0
		.amdhsa_reserve_vcc 1
		.amdhsa_float_round_mode_32 0
		.amdhsa_float_round_mode_16_64 0
		.amdhsa_float_denorm_mode_32 3
		.amdhsa_float_denorm_mode_16_64 3
		.amdhsa_fp16_overflow 0
		.amdhsa_memory_ordered 1
		.amdhsa_forward_progress 1
		.amdhsa_inst_pref_size 5
		.amdhsa_round_robin_scheduling 0
		.amdhsa_exception_fp_ieee_invalid_op 0
		.amdhsa_exception_fp_denorm_src 0
		.amdhsa_exception_fp_ieee_div_zero 0
		.amdhsa_exception_fp_ieee_overflow 0
		.amdhsa_exception_fp_ieee_underflow 0
		.amdhsa_exception_fp_ieee_inexact 0
		.amdhsa_exception_int_div_zero 0
	.end_amdhsa_kernel
	.text
.Lfunc_end3:
	.size	_Z11mergeKernelPji, .Lfunc_end3-_Z11mergeKernelPji
                                        ; -- End function
	.set _Z11mergeKernelPji.num_vgpr, 10
	.set _Z11mergeKernelPji.num_agpr, 0
	.set _Z11mergeKernelPji.numbered_sgpr, 9
	.set _Z11mergeKernelPji.num_named_barrier, 0
	.set _Z11mergeKernelPji.private_seg_size, 0
	.set _Z11mergeKernelPji.uses_vcc, 1
	.set _Z11mergeKernelPji.uses_flat_scratch, 0
	.set _Z11mergeKernelPji.has_dyn_sized_stack, 0
	.set _Z11mergeKernelPji.has_recursion, 0
	.set _Z11mergeKernelPji.has_indirect_call, 0
	.section	.AMDGPU.csdata,"",@progbits
; Kernel info:
; codeLenInByte = 612
; TotalNumSgprs: 11
; NumVgprs: 10
; ScratchSize: 0
; MemoryBound: 0
; FloatMode: 240
; IeeeMode: 1
; LDSByteSize: 0 bytes/workgroup (compile time only)
; SGPRBlocks: 0
; VGPRBlocks: 0
; NumSGPRsForWavesPerEU: 11
; NumVGPRsForWavesPerEU: 10
; NamedBarCnt: 0
; Occupancy: 16
; WaveLimiterHint : 0
; COMPUTE_PGM_RSRC2:SCRATCH_EN: 0
; COMPUTE_PGM_RSRC2:USER_SGPR: 2
; COMPUTE_PGM_RSRC2:TRAP_HANDLER: 0
; COMPUTE_PGM_RSRC2:TGID_X_EN: 1
; COMPUTE_PGM_RSRC2:TGID_Y_EN: 0
; COMPUTE_PGM_RSRC2:TGID_Z_EN: 0
; COMPUTE_PGM_RSRC2:TIDIG_COMP_CNT: 0
	.text
	.p2alignl 7, 3214868480
	.fill 96, 4, 3214868480
	.section	.AMDGPU.gpr_maximums,"",@progbits
	.set amdgpu.max_num_vgpr, 0
	.set amdgpu.max_num_agpr, 0
	.set amdgpu.max_num_sgpr, 0
	.text
	.protected	binbounds               ; @binbounds
	.type	binbounds,@object
	.section	.rodata,"a",@progbits
	.globl	binbounds
	.p2align	4, 0x0
binbounds:
	.zero	504
	.size	binbounds, 504

	.type	__hip_cuid_b576ceadcaa430b8,@object ; @__hip_cuid_b576ceadcaa430b8
	.section	.bss,"aw",@nobits
	.globl	__hip_cuid_b576ceadcaa430b8
__hip_cuid_b576ceadcaa430b8:
	.byte	0                               ; 0x0
	.size	__hip_cuid_b576ceadcaa430b8, 1

	.ident	"AMD clang version 22.0.0git (https://github.com/RadeonOpenCompute/llvm-project roc-7.2.4 26084 f58b06dce1f9c15707c5f808fd002e18c2accf7e)"
	.section	".note.GNU-stack","",@progbits
	.addrsig
	.addrsig_sym binbounds
	.addrsig_sym __hip_cuid_b576ceadcaa430b8
	.amdgpu_metadata
---
amdhsa.kernels:
  - .args:
      - .offset:         0
        .size:           32
        .value_kind:     by_value
      - .address_space:  global
        .offset:         32
        .size:           8
        .value_kind:     global_buffer
    .group_segment_fixed_size: 0
    .kernarg_segment_align: 8
    .kernarg_segment_size: 40
    .language:       OpenCL C
    .language_version:
      - 2
      - 0
    .max_flat_workgroup_size: 1024
    .name:           _Z13ACFKernelSymm9cartesianPj
    .private_segment_fixed_size: 0
    .sgpr_count:     107
    .sgpr_spill_count: 509
    .symbol:         _Z13ACFKernelSymm9cartesianPj.kd
    .uniform_work_group_size: 1
    .uses_dynamic_stack: false
    .vgpr_count:     19
    .vgpr_spill_count: 0
    .wavefront_size: 32
  - .args:
      - .offset:         0
        .size:           32
        .value_kind:     by_value
      - .offset:         32
        .size:           32
        .value_kind:     by_value
      - .address_space:  global
        .offset:         64
        .size:           8
        .value_kind:     global_buffer
    .group_segment_fixed_size: 0
    .kernarg_segment_align: 8
    .kernarg_segment_size: 72
    .language:       OpenCL C
    .language_version:
      - 2
      - 0
    .max_flat_workgroup_size: 1024
    .name:           _Z9ACFKernel9cartesianS_Pj
    .private_segment_fixed_size: 0
    .sgpr_count:     99
    .sgpr_spill_count: 0
    .symbol:         _Z9ACFKernel9cartesianS_Pj.kd
    .uniform_work_group_size: 1
    .uses_dynamic_stack: false
    .vgpr_count:     18
    .vgpr_spill_count: 0
    .wavefront_size: 32
  - .args:
      - .actual_access:  write_only
        .address_space:  global
        .offset:         0
        .size:           8
        .value_kind:     global_buffer
      - .actual_access:  read_only
        .address_space:  global
        .offset:         8
        .size:           8
        .value_kind:     global_buffer
      - .offset:         16
        .size:           4
        .value_kind:     by_value
      - .offset:         24
        .size:           4
        .value_kind:     hidden_block_count_x
      - .offset:         28
        .size:           4
        .value_kind:     hidden_block_count_y
      - .offset:         32
        .size:           4
        .value_kind:     hidden_block_count_z
      - .offset:         36
        .size:           2
        .value_kind:     hidden_group_size_x
      - .offset:         38
        .size:           2
        .value_kind:     hidden_group_size_y
      - .offset:         40
        .size:           2
        .value_kind:     hidden_group_size_z
      - .offset:         42
        .size:           2
        .value_kind:     hidden_remainder_x
      - .offset:         44
        .size:           2
        .value_kind:     hidden_remainder_y
      - .offset:         46
        .size:           2
        .value_kind:     hidden_remainder_z
      - .offset:         64
        .size:           8
        .value_kind:     hidden_global_offset_x
      - .offset:         72
        .size:           8
        .value_kind:     hidden_global_offset_y
      - .offset:         80
        .size:           8
        .value_kind:     hidden_global_offset_z
      - .offset:         88
        .size:           2
        .value_kind:     hidden_grid_dims
    .group_segment_fixed_size: 8192
    .kernarg_segment_align: 8
    .kernarg_segment_size: 280
    .language:       OpenCL C
    .language_version:
      - 2
      - 0
    .max_flat_workgroup_size: 1024
    .name:           _Z11histoKernelPjS_i
    .private_segment_fixed_size: 0
    .sgpr_count:     12
    .sgpr_spill_count: 0
    .symbol:         _Z11histoKernelPjS_i.kd
    .uniform_work_group_size: 1
    .uses_dynamic_stack: false
    .vgpr_count:     15
    .vgpr_spill_count: 0
    .wavefront_size: 32
  - .args:
      - .address_space:  global
        .offset:         0
        .size:           8
        .value_kind:     global_buffer
      - .offset:         8
        .size:           4
        .value_kind:     by_value
      - .offset:         16
        .size:           4
        .value_kind:     hidden_block_count_x
      - .offset:         20
        .size:           4
        .value_kind:     hidden_block_count_y
      - .offset:         24
        .size:           4
        .value_kind:     hidden_block_count_z
      - .offset:         28
        .size:           2
        .value_kind:     hidden_group_size_x
      - .offset:         30
        .size:           2
        .value_kind:     hidden_group_size_y
      - .offset:         32
        .size:           2
        .value_kind:     hidden_group_size_z
      - .offset:         34
        .size:           2
        .value_kind:     hidden_remainder_x
      - .offset:         36
        .size:           2
        .value_kind:     hidden_remainder_y
      - .offset:         38
        .size:           2
        .value_kind:     hidden_remainder_z
      - .offset:         56
        .size:           8
        .value_kind:     hidden_global_offset_x
      - .offset:         64
        .size:           8
        .value_kind:     hidden_global_offset_y
      - .offset:         72
        .size:           8
        .value_kind:     hidden_global_offset_z
      - .offset:         80
        .size:           2
        .value_kind:     hidden_grid_dims
    .group_segment_fixed_size: 0
    .kernarg_segment_align: 8
    .kernarg_segment_size: 272
    .language:       OpenCL C
    .language_version:
      - 2
      - 0
    .max_flat_workgroup_size: 1024
    .name:           _Z11mergeKernelPji
    .private_segment_fixed_size: 0
    .sgpr_count:     11
    .sgpr_spill_count: 0
    .symbol:         _Z11mergeKernelPji.kd
    .uniform_work_group_size: 1
    .uses_dynamic_stack: false
    .vgpr_count:     10
    .vgpr_spill_count: 0
    .wavefront_size: 32
amdhsa.target:   amdgcn-amd-amdhsa--gfx1250
amdhsa.version:
  - 1
  - 2
...

	.end_amdgpu_metadata
